;; amdgpu-corpus repo=ROCm/rocFFT kind=compiled arch=gfx950 opt=O3
	.text
	.amdgcn_target "amdgcn-amd-amdhsa--gfx950"
	.amdhsa_code_object_version 6
	.protected	bluestein_single_back_len10240_dim1_half_op_CI_CI ; -- Begin function bluestein_single_back_len10240_dim1_half_op_CI_CI
	.globl	bluestein_single_back_len10240_dim1_half_op_CI_CI
	.p2align	8
	.type	bluestein_single_back_len10240_dim1_half_op_CI_CI,@function
bluestein_single_back_len10240_dim1_half_op_CI_CI: ; @bluestein_single_back_len10240_dim1_half_op_CI_CI
; %bb.0:
	s_load_dwordx4 s[12:15], s[0:1], 0x28
	s_mov_b32 s3, 0
	s_waitcnt lgkmcnt(0)
	v_mov_b32_e32 v2, s12
	v_mov_b32_e32 v3, s13
	v_cmp_lt_u64_e32 vcc, s[2:3], v[2:3]
	s_and_saveexec_b64 s[4:5], vcc
	s_cbranch_execz .LBB0_15
; %bb.1:
	s_load_dwordx4 s[4:7], s[0:1], 0x18
	s_load_dwordx2 s[12:13], s[0:1], 0x0
	v_mov_b64_e32 v[44:45], s[2:3]
	v_mov_b32_e32 v2, s14
	v_mov_b32_e32 v3, s15
	s_waitcnt lgkmcnt(0)
	s_load_dwordx4 s[8:11], s[4:5], 0x0
	v_lshlrev_b32_e32 v40, 2, v0
	global_load_dword v1, v40, s[12:13]
	v_mov_b32_e32 v41, 0
	v_lshl_add_u64 v[42:43], s[12:13], 0, v[40:41]
	s_waitcnt lgkmcnt(0)
	v_mad_u64_u32 v[4:5], s[2:3], s10, v44, 0
	v_mov_b32_e32 v8, v5
	v_mad_u64_u32 v[6:7], s[2:3], s8, v0, 0
	v_mad_u64_u32 v[8:9], s[2:3], s11, v44, v[8:9]
	v_mov_b32_e32 v5, v8
	v_mov_b32_e32 v8, v7
	v_mad_u64_u32 v[8:9], s[2:3], s9, v0, v[8:9]
	v_mov_b32_e32 v7, v8
	v_lshl_add_u64 v[2:3], v[4:5], 2, v[2:3]
	v_lshl_add_u64 v[2:3], v[6:7], 2, v[2:3]
	global_load_dword v10, v[2:3], off
	s_movk_i32 s2, 0x1000
	s_mul_i32 s3, s9, 0x500
	s_mul_hi_u32 s4, s8, 0x500
	v_add_co_u32_e32 v4, vcc, s2, v42
	s_mul_i32 s2, s8, 0x500
	s_add_i32 s3, s4, s3
	s_lshl_b64 s[14:15], s[2:3], 2
	v_lshl_add_u64 v[2:3], v[2:3], 0, s[14:15]
	v_addc_co_u32_e32 v5, vcc, 0, v43, vcc
	global_load_dword v11, v[2:3], off
	global_load_dword v80, v[4:5], off offset:1024
	v_or_b32_e32 v6, 0xa00, v0
	v_lshl_add_u64 v[2:3], v[2:3], 0, s[14:15]
	v_lshlrev_b32_e32 v58, 2, v6
	global_load_dword v12, v[2:3], off
	global_load_dword v81, v58, s[12:13]
	v_or_b32_e32 v7, 0x1400, v0
	v_or_b32_e32 v8, 0x1e00, v0
	v_lshlrev_b32_e32 v57, 2, v7
	v_lshl_add_u64 v[2:3], v[2:3], 0, s[14:15]
	s_movk_i32 s16, 0x3000
	v_lshlrev_b32_e32 v46, 2, v8
	s_load_dwordx4 s[4:7], s[6:7], 0x0
	global_load_dword v78, v57, s[12:13]
	global_load_dword v76, v46, s[12:13]
	global_load_dword v13, v[2:3], off
	v_add_co_u32_e32 v6, vcc, s16, v42
	v_or_b32_e32 v9, 0x2000, v0
	s_nop 0
	v_addc_co_u32_e32 v7, vcc, 0, v43, vcc
	v_lshlrev_b32_e32 v56, 2, v9
	global_load_dword v79, v[6:7], off offset:3072
	global_load_dword v74, v40, s[12:13] offset:2048
	global_load_dword v35, v56, s[12:13]
	v_lshl_add_u64 v[2:3], v[2:3], 0, s[14:15]
	global_load_dword v14, v[2:3], off
	s_movk_i32 s17, 0x6000
	v_add_co_u32_e32 v6, vcc, s17, v42
	v_lshl_add_u64 v[2:3], v[2:3], 0, s[14:15]
	s_nop 0
	v_addc_co_u32_e32 v7, vcc, 0, v43, vcc
	global_load_dword v15, v[2:3], off
	global_load_dword v77, v[6:7], off offset:1024
	s_mov_b32 s18, 0x8000
	v_add_co_u32_e32 v8, vcc, s18, v42
	v_lshl_add_u64 v[2:3], v[2:3], 0, s[14:15]
	s_nop 0
	v_addc_co_u32_e32 v9, vcc, 0, v43, vcc
	global_load_dword v16, v[2:3], off
	global_load_dword v75, v[8:9], off offset:3072
	v_lshl_add_u64 v[2:3], v[2:3], 0, s[14:15]
	s_mul_i32 s3, s9, 0xffffdf00
	s_mul_hi_u32 s9, s8, 0xffffdf00
	global_load_dword v17, v[2:3], off
	s_mul_i32 s16, s8, 0xffffdf00
	s_sub_i32 s8, s9, s8
	s_add_i32 s17, s8, s3
	v_lshl_add_u64 v[2:3], s[16:17], 2, v[2:3]
	global_load_dword v18, v[2:3], off
	s_mov_b32 s2, 0x9000
	v_add_co_u32_e32 v8, vcc, s2, v42
	v_lshl_add_u64 v[2:3], v[2:3], 0, s[14:15]
	s_nop 0
	v_addc_co_u32_e32 v9, vcc, 0, v43, vcc
	global_load_dword v31, v[8:9], off offset:1024
	global_load_dword v19, v[2:3], off
	global_load_dword v73, v[4:5], off offset:3072
	v_or_b32_e32 v4, 0xc00, v0
	v_lshl_add_u64 v[2:3], v[2:3], 0, s[14:15]
	global_load_dword v20, v[2:3], off
	v_lshlrev_b32_e32 v60, 2, v4
	global_load_dword v72, v60, s[12:13]
	s_movk_i32 s2, 0x4000
	v_lshl_add_u64 v[4:5], v[2:3], 0, s[14:15]
	v_add_co_u32_e32 v2, vcc, s2, v42
	global_load_dword v21, v[4:5], off
	s_nop 0
	v_addc_co_u32_e32 v3, vcc, 0, v43, vcc
	global_load_dword v71, v[2:3], off offset:1024
	s_waitcnt vmcnt(24)
	v_lshrrev_b32_e32 v8, 16, v10
	v_mul_f16_sdwa v9, v1, v8 dst_sel:DWORD dst_unused:UNUSED_PAD src0_sel:WORD_1 src1_sel:DWORD
	v_fma_f16 v9, v1, v10, v9
	v_mul_f16_sdwa v10, v1, v10 dst_sel:DWORD dst_unused:UNUSED_PAD src0_sel:WORD_1 src1_sel:DWORD
	v_fma_f16 v8, v1, v8, -v10
	v_or_b32_e32 v10, 0x1600, v0
	v_lshl_add_u64 v[4:5], v[4:5], 0, s[14:15]
	global_load_dword v22, v[4:5], off
	v_lshlrev_b32_e32 v59, 2, v10
	global_load_dword v70, v59, s[12:13]
	v_lshl_add_u64 v[4:5], v[4:5], 0, s[14:15]
	v_pack_b32_f16 v8, v9, v8
	s_waitcnt vmcnt(25)
	v_lshrrev_b32_e32 v9, 16, v11
	global_load_dword v23, v[4:5], off
	global_load_dword v45, v[6:7], off offset:3072
	s_waitcnt vmcnt(26)
	v_mul_f16_sdwa v10, v80, v9 dst_sel:DWORD dst_unused:UNUSED_PAD src0_sel:WORD_1 src1_sel:DWORD
	v_mul_f16_sdwa v6, v80, v11 dst_sel:DWORD dst_unused:UNUSED_PAD src0_sel:WORD_1 src1_sel:DWORD
	v_fma_f16 v10, v80, v11, v10
	v_fma_f16 v6, v80, v9, -v6
	v_lshl_add_u64 v[4:5], v[4:5], 0, s[14:15]
	v_pack_b32_f16 v9, v10, v6
	s_waitcnt vmcnt(25)
	v_lshrrev_b32_e32 v6, 16, v12
	global_load_dword v10, v[4:5], off
	s_waitcnt vmcnt(25)
	v_mul_f16_sdwa v7, v81, v6 dst_sel:DWORD dst_unused:UNUSED_PAD src0_sel:WORD_1 src1_sel:DWORD
	v_mul_f16_sdwa v11, v81, v12 dst_sel:DWORD dst_unused:UNUSED_PAD src0_sel:WORD_1 src1_sel:DWORD
	v_fma_f16 v7, v81, v12, v7
	v_fma_f16 v6, v81, v6, -v11
	v_pack_b32_f16 v11, v7, v6
	v_lshl_add_u64 v[6:7], v[4:5], 0, s[14:15]
	global_load_dword v4, v[6:7], off
	s_waitcnt vmcnt(23)
	v_lshrrev_b32_e32 v12, 16, v13
	s_waitcnt vmcnt(22)
	v_mul_f16_sdwa v5, v79, v12 dst_sel:DWORD dst_unused:UNUSED_PAD src0_sel:WORD_1 src1_sel:DWORD
	v_fma_f16 v5, v79, v13, v5
	v_mul_f16_sdwa v13, v79, v13 dst_sel:DWORD dst_unused:UNUSED_PAD src0_sel:WORD_1 src1_sel:DWORD
	v_fma_f16 v12, v79, v12, -v13
	v_pack_b32_f16 v5, v5, v12
	s_waitcnt vmcnt(19)
	v_lshrrev_b32_e32 v12, 16, v14
	v_mul_f16_sdwa v13, v78, v12 dst_sel:DWORD dst_unused:UNUSED_PAD src0_sel:WORD_1 src1_sel:DWORD
	v_fma_f16 v13, v78, v14, v13
	v_mul_f16_sdwa v14, v78, v14 dst_sel:DWORD dst_unused:UNUSED_PAD src0_sel:WORD_1 src1_sel:DWORD
	v_fma_f16 v12, v78, v12, -v14
	v_pack_b32_f16 v12, v13, v12
	s_waitcnt vmcnt(18)
	v_lshrrev_b32_e32 v13, 16, v15
	s_waitcnt vmcnt(17)
	v_mul_f16_sdwa v14, v77, v13 dst_sel:DWORD dst_unused:UNUSED_PAD src0_sel:WORD_1 src1_sel:DWORD
	v_fma_f16 v14, v77, v15, v14
	v_mul_f16_sdwa v15, v77, v15 dst_sel:DWORD dst_unused:UNUSED_PAD src0_sel:WORD_1 src1_sel:DWORD
	v_fma_f16 v13, v77, v13, -v15
	v_pack_b32_f16 v13, v14, v13
	s_load_dwordx2 s[10:11], s[0:1], 0x38
	s_waitcnt vmcnt(16)
	v_lshrrev_b32_e32 v14, 16, v16
	v_mul_f16_sdwa v15, v76, v14 dst_sel:DWORD dst_unused:UNUSED_PAD src0_sel:WORD_1 src1_sel:DWORD
	v_fma_f16 v15, v76, v16, v15
	v_mul_f16_sdwa v16, v76, v16 dst_sel:DWORD dst_unused:UNUSED_PAD src0_sel:WORD_1 src1_sel:DWORD
	v_fma_f16 v14, v76, v14, -v16
	v_pack_b32_f16 v14, v15, v14
	s_waitcnt vmcnt(14)
	v_lshrrev_b32_e32 v15, 16, v17
	v_mul_f16_sdwa v16, v75, v15 dst_sel:DWORD dst_unused:UNUSED_PAD src0_sel:WORD_1 src1_sel:DWORD
	v_fma_f16 v16, v75, v17, v16
	v_mul_f16_sdwa v17, v75, v17 dst_sel:DWORD dst_unused:UNUSED_PAD src0_sel:WORD_1 src1_sel:DWORD
	v_fma_f16 v15, v75, v15, -v17
	v_pack_b32_f16 v15, v16, v15
	;; [unrolled: 7-line block ×3, first 2 shown]
	ds_write2st64_b32 v40, v8, v16 offset1:8
	s_waitcnt vmcnt(11)
	v_lshrrev_b32_e32 v8, 16, v19
	s_waitcnt vmcnt(10)
	v_mul_f16_sdwa v16, v73, v8 dst_sel:DWORD dst_unused:UNUSED_PAD src0_sel:WORD_1 src1_sel:DWORD
	v_mul_f16_sdwa v17, v73, v19 dst_sel:DWORD dst_unused:UNUSED_PAD src0_sel:WORD_1 src1_sel:DWORD
	v_fma_f16 v16, v73, v19, v16
	v_fma_f16 v8, v73, v8, -v17
	v_pack_b32_f16 v8, v16, v8
	ds_write2st64_b32 v40, v9, v8 offset0:20 offset1:28
	s_waitcnt vmcnt(9)
	v_lshrrev_b32_e32 v8, 16, v20
	s_waitcnt vmcnt(8)
	v_mul_f16_sdwa v9, v72, v8 dst_sel:DWORD dst_unused:UNUSED_PAD src0_sel:WORD_1 src1_sel:DWORD
	v_mul_f16_sdwa v16, v72, v20 dst_sel:DWORD dst_unused:UNUSED_PAD src0_sel:WORD_1 src1_sel:DWORD
	v_fma_f16 v9, v72, v20, v9
	v_fma_f16 v8, v72, v8, -v16
	v_pack_b32_f16 v8, v9, v8
	ds_write2st64_b32 v40, v11, v8 offset0:40 offset1:48
	s_waitcnt vmcnt(7)
	v_lshrrev_b32_e32 v8, 16, v21
	s_waitcnt vmcnt(6)
	v_mul_f16_sdwa v9, v71, v8 dst_sel:DWORD dst_unused:UNUSED_PAD src0_sel:WORD_1 src1_sel:DWORD
	v_mul_f16_sdwa v11, v71, v21 dst_sel:DWORD dst_unused:UNUSED_PAD src0_sel:WORD_1 src1_sel:DWORD
	v_fma_f16 v9, v71, v21, v9
	v_fma_f16 v8, v71, v8, -v11
	v_pack_b32_f16 v8, v9, v8
	ds_write2st64_b32 v40, v5, v8 offset0:60 offset1:68
	s_waitcnt vmcnt(5)
	v_lshrrev_b32_e32 v5, 16, v22
	s_waitcnt vmcnt(4)
	v_mul_f16_sdwa v8, v70, v5 dst_sel:DWORD dst_unused:UNUSED_PAD src0_sel:WORD_1 src1_sel:DWORD
	v_mul_f16_sdwa v9, v70, v22 dst_sel:DWORD dst_unused:UNUSED_PAD src0_sel:WORD_1 src1_sel:DWORD
	v_fma_f16 v8, v70, v22, v8
	v_fma_f16 v5, v70, v5, -v9
	v_pack_b32_f16 v5, v8, v5
	ds_write2st64_b32 v40, v12, v5 offset0:80 offset1:88
	s_waitcnt vmcnt(3)
	v_lshrrev_b32_e32 v5, 16, v23
	s_waitcnt vmcnt(2)
	v_mul_f16_sdwa v8, v45, v5 dst_sel:DWORD dst_unused:UNUSED_PAD src0_sel:WORD_1 src1_sel:DWORD
	v_mul_f16_sdwa v9, v45, v23 dst_sel:DWORD dst_unused:UNUSED_PAD src0_sel:WORD_1 src1_sel:DWORD
	v_fma_f16 v8, v45, v23, v8
	v_fma_f16 v5, v45, v5, -v9
	v_pack_b32_f16 v5, v8, v5
	ds_write2st64_b32 v40, v13, v5 offset0:100 offset1:108
	s_waitcnt vmcnt(1)
	v_lshrrev_b32_e32 v5, 16, v10
	v_mul_f16_sdwa v8, v35, v5 dst_sel:DWORD dst_unused:UNUSED_PAD src0_sel:WORD_1 src1_sel:DWORD
	v_mul_f16_sdwa v9, v35, v10 dst_sel:DWORD dst_unused:UNUSED_PAD src0_sel:WORD_1 src1_sel:DWORD
	v_fma_f16 v8, v35, v10, v8
	v_fma_f16 v5, v35, v5, -v9
	v_pack_b32_f16 v5, v8, v5
	ds_write2st64_b32 v40, v14, v5 offset0:120 offset1:128
	s_waitcnt vmcnt(0)
	v_lshrrev_b32_e32 v5, 16, v4
	v_mul_f16_sdwa v8, v31, v5 dst_sel:DWORD dst_unused:UNUSED_PAD src0_sel:WORD_1 src1_sel:DWORD
	v_fma_f16 v8, v31, v4, v8
	v_mul_f16_sdwa v4, v31, v4 dst_sel:DWORD dst_unused:UNUSED_PAD src0_sel:WORD_1 src1_sel:DWORD
	v_fma_f16 v4, v31, v5, -v4
	v_pack_b32_f16 v4, v8, v4
	ds_write2st64_b32 v40, v15, v4 offset0:140 offset1:148
	v_or_b32_e32 v4, 0x400, v0
	v_mov_b32_e32 v5, v41
	s_mov_b64 s[2:3], 0x500
	s_movk_i32 s18, 0x2000
	v_cmp_gt_u64_e64 s[2:3], s[2:3], v[4:5]
	v_lshlrev_b32_e32 v39, 2, v4
	s_and_saveexec_b64 s[8:9], s[2:3]
	s_cbranch_execz .LBB0_3
; %bb.2:
	v_lshl_add_u64 v[6:7], s[16:17], 2, v[6:7]
	v_add_co_u32_e32 v8, vcc, s18, v42
	global_load_dword v5, v[6:7], off
	global_load_dword v10, v39, s[12:13]
	v_lshl_add_u64 v[6:7], v[6:7], 0, s[14:15]
	v_addc_co_u32_e32 v9, vcc, 0, v43, vcc
	global_load_dword v11, v[6:7], off
	v_lshl_add_u64 v[6:7], v[6:7], 0, s[14:15]
	global_load_dword v8, v[8:9], off offset:1024
	v_or_b32_e32 v12, 0x3800, v40
	global_load_dword v9, v[6:7], off
	v_lshl_add_u64 v[6:7], v[6:7], 0, s[14:15]
	global_load_dword v12, v12, s[12:13]
	s_nop 0
	global_load_dword v13, v[6:7], off
	global_load_dword v14, v[2:3], off offset:3072
	s_movk_i32 s16, 0x7000
	v_lshl_add_u64 v[2:3], v[6:7], 0, s[14:15]
	v_or_b32_e32 v15, 0x6000, v40
	global_load_dword v16, v[2:3], off
	global_load_dword v17, v15, s[12:13]
	v_add_co_u32_e32 v6, vcc, s16, v42
	v_lshl_add_u64 v[2:3], v[2:3], 0, s[14:15]
	s_nop 0
	v_addc_co_u32_e32 v7, vcc, 0, v43, vcc
	global_load_dword v15, v[2:3], off
	global_load_dword v18, v[6:7], off offset:1024
	v_lshl_add_u64 v[2:3], v[2:3], 0, s[14:15]
	v_or_b32_e32 v6, 0x8800, v40
	global_load_dword v20, v[2:3], off
	global_load_dword v19, v6, s[12:13]
	v_add_co_u32_e32 v6, vcc, 0x9000, v42
	v_lshl_add_u64 v[2:3], v[2:3], 0, s[14:15]
	s_nop 0
	v_addc_co_u32_e32 v7, vcc, 0, v43, vcc
	global_load_dword v21, v[2:3], off
	global_load_dword v22, v[6:7], off offset:3072
	s_waitcnt vmcnt(15)
	v_lshrrev_b32_e32 v2, 16, v5
	s_waitcnt vmcnt(14)
	v_mul_f16_sdwa v3, v10, v5 dst_sel:DWORD dst_unused:UNUSED_PAD src0_sel:WORD_1 src1_sel:DWORD
	v_mul_f16_sdwa v6, v10, v2 dst_sel:DWORD dst_unused:UNUSED_PAD src0_sel:WORD_1 src1_sel:DWORD
	v_fma_f16 v2, v10, v2, -v3
	v_fma_f16 v5, v10, v5, v6
	s_waitcnt vmcnt(13)
	v_lshrrev_b32_e32 v3, 16, v11
	v_pack_b32_f16 v2, v5, v2
	s_waitcnt vmcnt(12)
	v_mul_f16_sdwa v7, v8, v11 dst_sel:DWORD dst_unused:UNUSED_PAD src0_sel:WORD_1 src1_sel:DWORD
	v_mul_f16_sdwa v6, v8, v3 dst_sel:DWORD dst_unused:UNUSED_PAD src0_sel:WORD_1 src1_sel:DWORD
	v_fma_f16 v3, v8, v3, -v7
	s_waitcnt vmcnt(11)
	v_lshrrev_b32_e32 v7, 16, v9
	s_waitcnt vmcnt(10)
	v_mul_f16_sdwa v10, v12, v9 dst_sel:DWORD dst_unused:UNUSED_PAD src0_sel:WORD_1 src1_sel:DWORD
	v_fma_f16 v5, v8, v11, v6
	v_mul_f16_sdwa v6, v12, v7 dst_sel:DWORD dst_unused:UNUSED_PAD src0_sel:WORD_1 src1_sel:DWORD
	v_fma_f16 v7, v12, v7, -v10
	s_waitcnt vmcnt(9)
	v_lshrrev_b32_e32 v8, 16, v13
	s_waitcnt vmcnt(8)
	v_mul_f16_sdwa v10, v14, v13 dst_sel:DWORD dst_unused:UNUSED_PAD src0_sel:WORD_1 src1_sel:DWORD
	v_pack_b32_f16 v3, v5, v3
	v_fma_f16 v5, v12, v9, v6
	v_mul_f16_sdwa v6, v14, v8 dst_sel:DWORD dst_unused:UNUSED_PAD src0_sel:WORD_1 src1_sel:DWORD
	v_fma_f16 v8, v14, v8, -v10
	s_waitcnt vmcnt(7)
	v_lshrrev_b32_e32 v9, 16, v16
	s_waitcnt vmcnt(6)
	v_mul_f16_sdwa v10, v17, v16 dst_sel:DWORD dst_unused:UNUSED_PAD src0_sel:WORD_1 src1_sel:DWORD
	ds_write2st64_b32 v40, v2, v3 offset0:16 offset1:36
	v_pack_b32_f16 v2, v5, v7
	v_fma_f16 v3, v14, v13, v6
	v_mul_f16_sdwa v5, v17, v9 dst_sel:DWORD dst_unused:UNUSED_PAD src0_sel:WORD_1 src1_sel:DWORD
	v_fma_f16 v6, v17, v9, -v10
	s_waitcnt vmcnt(5)
	v_lshrrev_b32_e32 v7, 16, v15
	s_waitcnt vmcnt(4)
	v_mul_f16_sdwa v9, v18, v15 dst_sel:DWORD dst_unused:UNUSED_PAD src0_sel:WORD_1 src1_sel:DWORD
	v_pack_b32_f16 v3, v3, v8
	v_fma_f16 v5, v17, v16, v5
	v_mul_f16_sdwa v8, v18, v7 dst_sel:DWORD dst_unused:UNUSED_PAD src0_sel:WORD_1 src1_sel:DWORD
	v_fma_f16 v7, v18, v7, -v9
	s_waitcnt vmcnt(3)
	v_lshrrev_b32_e32 v9, 16, v20
	s_waitcnt vmcnt(2)
	v_mul_f16_sdwa v10, v19, v20 dst_sel:DWORD dst_unused:UNUSED_PAD src0_sel:WORD_1 src1_sel:DWORD
	ds_write2st64_b32 v40, v2, v3 offset0:56 offset1:76
	v_pack_b32_f16 v2, v5, v6
	v_fma_f16 v3, v18, v15, v8
	v_mul_f16_sdwa v5, v19, v9 dst_sel:DWORD dst_unused:UNUSED_PAD src0_sel:WORD_1 src1_sel:DWORD
	s_waitcnt vmcnt(1)
	v_lshrrev_b32_e32 v8, 16, v21
	v_fma_f16 v6, v19, v9, -v10
	s_waitcnt vmcnt(0)
	v_mul_f16_sdwa v9, v22, v21 dst_sel:DWORD dst_unused:UNUSED_PAD src0_sel:WORD_1 src1_sel:DWORD
	v_pack_b32_f16 v3, v3, v7
	v_fma_f16 v5, v19, v20, v5
	v_mul_f16_sdwa v7, v22, v8 dst_sel:DWORD dst_unused:UNUSED_PAD src0_sel:WORD_1 src1_sel:DWORD
	ds_write2st64_b32 v40, v2, v3 offset0:96 offset1:116
	v_pack_b32_f16 v2, v5, v6
	v_fma_f16 v3, v22, v21, v7
	v_fma_f16 v5, v22, v8, -v9
	v_pack_b32_f16 v3, v3, v5
	ds_write2st64_b32 v40, v2, v3 offset0:136 offset1:156
.LBB0_3:
	s_or_b64 exec, exec, s[8:9]
	s_waitcnt lgkmcnt(0)
	s_barrier
	ds_read2st64_b32 v[8:9], v40 offset1:8
	ds_read2st64_b32 v[6:7], v40 offset0:20 offset1:28
	ds_read2st64_b32 v[12:13], v40 offset0:40 offset1:48
	;; [unrolled: 1-line block ×7, first 2 shown]
	s_load_dwordx2 s[0:1], s[0:1], 0x8
                                        ; implicit-def: $vgpr2
                                        ; implicit-def: $vgpr15
                                        ; implicit-def: $vgpr16
                                        ; implicit-def: $vgpr18
	s_and_saveexec_b64 s[8:9], s[2:3]
	s_cbranch_execz .LBB0_5
; %bb.4:
	ds_read2st64_b32 v[2:3], v40 offset0:16 offset1:36
	ds_read2st64_b32 v[16:17], v40 offset0:56 offset1:136
	;; [unrolled: 1-line block ×4, first 2 shown]
.LBB0_5:
	s_or_b64 exec, exec, s[8:9]
	s_waitcnt lgkmcnt(0)
	v_pk_add_f16 v22, v8, v22 neg_lo:[0,1] neg_hi:[0,1]
	v_pk_add_f16 v20, v6, v20 neg_lo:[0,1] neg_hi:[0,1]
	;; [unrolled: 1-line block ×4, first 2 shown]
	v_lshrrev_b32_e32 v29, 16, v22
	v_lshrrev_b32_e32 v34, 16, v20
	v_add_f16_e32 v30, v29, v26
	v_add_f16_e32 v36, v34, v24
	v_sub_f16_sdwa v5, v22, v26 dst_sel:DWORD dst_unused:UNUSED_PAD src0_sel:DWORD src1_sel:WORD_1
	v_fma_f16 v29, v29, 2.0, -v30
	v_sub_f16_sdwa v33, v20, v24 dst_sel:DWORD dst_unused:UNUSED_PAD src0_sel:DWORD src1_sel:WORD_1
	v_fma_f16 v34, v34, 2.0, -v36
	s_mov_b32 s8, 0xb9a8
	v_fma_f16 v32, v22, 2.0, -v5
	v_fma_f16 v37, v20, 2.0, -v33
	v_fma_f16 v41, v34, s8, v29
	s_movk_i32 s9, 0x39a8
	v_fma_f16 v38, v37, s8, v32
	v_fma_f16 v37, v37, s9, v41
	;; [unrolled: 1-line block ×6, first 2 shown]
	v_pk_add_f16 v41, v9, v23 neg_lo:[0,1] neg_hi:[0,1]
	v_pk_add_f16 v50, v7, v21 neg_lo:[0,1] neg_hi:[0,1]
	v_fma_f16 v36, v36, s8, v38
	v_pk_add_f16 v27, v13, v27 neg_lo:[0,1] neg_hi:[0,1]
	v_pk_add_f16 v51, v11, v25 neg_lo:[0,1] neg_hi:[0,1]
	v_lshrrev_b32_e32 v21, 16, v41
	v_lshrrev_b32_e32 v48, 16, v50
	v_fma_f16 v38, v5, 2.0, -v36
	v_sub_f16_sdwa v5, v41, v27 dst_sel:DWORD dst_unused:UNUSED_PAD src0_sel:DWORD src1_sel:WORD_1
	v_add_f16_e32 v23, v21, v27
	v_sub_f16_sdwa v47, v50, v51 dst_sel:DWORD dst_unused:UNUSED_PAD src0_sel:DWORD src1_sel:WORD_1
	v_add_f16_e32 v49, v48, v51
	v_fma_f16 v25, v41, 2.0, -v5
	v_fma_f16 v21, v21, 2.0, -v23
	;; [unrolled: 1-line block ×4, first 2 shown]
	v_fma_f16 v53, v52, s8, v25
	v_fma_f16 v54, v48, s8, v21
	v_fma_f16 v53, v48, s8, v53
	v_fma_f16 v52, v52, s9, v54
	v_fma_f16 v54, v25, 2.0, -v53
	v_fma_f16 v55, v21, 2.0, -v52
	v_fma_f16 v21, v47, s9, v5
	v_fma_f16 v25, v49, s9, v23
	;; [unrolled: 1-line block ×4, first 2 shown]
	v_pk_add_f16 v15, v2, v15 neg_lo:[0,1] neg_hi:[0,1]
	v_pk_add_f16 v21, v16, v17 neg_lo:[0,1] neg_hi:[0,1]
	v_fma_f16 v63, v5, 2.0, -v61
	v_fma_f16 v64, v23, 2.0, -v62
	v_pk_add_f16 v23, v3, v18 neg_lo:[0,1] neg_hi:[0,1]
	v_pk_add_f16 v25, v14, v19 neg_lo:[0,1] neg_hi:[0,1]
	v_sub_f16_sdwa v5, v15, v21 dst_sel:DWORD dst_unused:UNUSED_PAD src0_sel:DWORD src1_sel:WORD_1
	v_lshrrev_b32_e32 v19, 16, v15
	v_pk_fma_f16 v8, v8, 2.0, v22 op_sel_hi:[1,0,1] neg_lo:[0,0,1] neg_hi:[0,0,1]
	v_pk_fma_f16 v12, v12, 2.0, v26 op_sel_hi:[1,0,1] neg_lo:[0,0,1] neg_hi:[0,0,1]
	;; [unrolled: 1-line block ×4, first 2 shown]
	v_add_f16_e32 v17, v21, v19
	v_fma_f16 v18, v15, 2.0, -v5
	v_pk_fma_f16 v2, v2, 2.0, v15 op_sel_hi:[1,0,1] neg_lo:[0,0,1] neg_hi:[0,0,1]
	v_pk_fma_f16 v15, v16, 2.0, v21 op_sel_hi:[1,0,1] neg_lo:[0,0,1] neg_hi:[0,0,1]
	v_pk_fma_f16 v16, v3, 2.0, v23 op_sel_hi:[1,0,1] neg_lo:[0,0,1] neg_hi:[0,0,1]
	v_pk_fma_f16 v21, v14, 2.0, v25 op_sel_hi:[1,0,1] neg_lo:[0,0,1] neg_hi:[0,0,1]
	v_pk_add_f16 v12, v8, v12 neg_lo:[0,1] neg_hi:[0,1]
	v_pk_add_f16 v10, v6, v10 neg_lo:[0,1] neg_hi:[0,1]
	;; [unrolled: 1-line block ×4, first 2 shown]
	v_lshrrev_b32_e32 v15, 16, v23
	v_pk_fma_f16 v8, v8, 2.0, v12 op_sel_hi:[1,0,1] neg_lo:[0,0,1] neg_hi:[0,0,1]
	v_pk_fma_f16 v6, v6, 2.0, v10 op_sel_hi:[1,0,1] neg_lo:[0,0,1] neg_hi:[0,0,1]
	;; [unrolled: 1-line block ×4, first 2 shown]
	v_sub_f16_sdwa v16, v23, v25 dst_sel:DWORD dst_unused:UNUSED_PAD src0_sel:DWORD src1_sel:WORD_1
	v_add_f16_e32 v25, v25, v15
	v_pk_add_f16 v20, v8, v6 neg_lo:[0,1] neg_hi:[0,1]
	v_fma_f16 v19, v19, 2.0, -v17
	v_fma_f16 v23, v23, 2.0, -v16
	;; [unrolled: 1-line block ×3, first 2 shown]
	v_pk_fma_f16 v22, v8, 2.0, v20 op_sel_hi:[1,0,1] neg_lo:[0,0,1] neg_hi:[0,0,1]
	v_lshrrev_b32_e32 v8, 16, v12
	v_fma_f16 v47, v23, s8, v18
	v_fma_f16 v48, v15, s8, v19
	v_sub_f16_sdwa v6, v12, v10 dst_sel:DWORD dst_unused:UNUSED_PAD src0_sel:DWORD src1_sel:WORD_1
	v_add_f16_e32 v10, v8, v10
	v_fma_f16 v32, v32, 2.0, -v34
	v_fma_f16 v29, v29, 2.0, -v37
	;; [unrolled: 1-line block ×3, first 2 shown]
	v_fma_f16 v47, v15, s8, v47
	v_fma_f16 v15, v23, s9, v48
	v_pk_add_f16 v48, v3, v21 op_sel:[0,1] op_sel_hi:[1,0] neg_lo:[0,1] neg_hi:[0,1]
	v_pk_add_f16 v99, v3, v21 op_sel:[0,1] op_sel_hi:[1,0]
	v_fma_f16 v21, v16, s9, v5
	v_fma_f16 v23, v25, s9, v17
	v_fma_f16 v12, v12, 2.0, -v6
	v_fma_f16 v8, v8, 2.0, -v10
	v_fma_f16 v49, v25, s8, v21
	v_fma_f16 v82, v16, s9, v23
	v_lshlrev_b32_e32 v83, 5, v0
	v_pack_b32_f16 v25, v38, v30
	v_pack_b32_f16 v24, v12, v8
	v_pack_b32_f16 v23, v32, v29
	s_barrier
	ds_write_b128 v83, v[22:25]
	v_pack_b32_f16 v22, v6, v10
	v_pk_fma_f16 v6, v9, 2.0, v41 op_sel_hi:[1,0,1] neg_lo:[0,0,1] neg_hi:[0,0,1]
	v_pk_fma_f16 v8, v13, 2.0, v27 op_sel_hi:[1,0,1] neg_lo:[0,0,1] neg_hi:[0,0,1]
	;; [unrolled: 1-line block ×4, first 2 shown]
	v_pk_add_f16 v10, v6, v8 neg_lo:[0,1] neg_hi:[0,1]
	v_pk_add_f16 v9, v7, v9 neg_lo:[0,1] neg_hi:[0,1]
	v_lshrrev_b32_e32 v11, 16, v10
	v_pk_fma_f16 v8, v6, 2.0, v10 op_sel_hi:[1,0,1] neg_lo:[0,0,1] neg_hi:[0,0,1]
	v_pk_fma_f16 v6, v7, 2.0, v9 op_sel_hi:[1,0,1] neg_lo:[0,0,1] neg_hi:[0,0,1]
	v_sub_f16_sdwa v7, v10, v9 dst_sel:DWORD dst_unused:UNUSED_PAD src0_sel:DWORD src1_sel:WORD_1
	v_add_f16_e32 v12, v11, v9
	v_or_b32_e32 v28, 0x200, v0
	v_pk_add_f16 v6, v8, v6 neg_lo:[0,1] neg_hi:[0,1]
	v_fma_f16 v9, v10, 2.0, -v7
	v_fma_f16 v10, v11, 2.0, -v12
	v_lshlrev_b32_e32 v84, 5, v28
	v_pk_fma_f16 v8, v8, 2.0, v6 op_sel_hi:[1,0,1] neg_lo:[0,0,1] neg_hi:[0,0,1]
	v_pack_b32_f16 v11, v63, v64
	v_pack_b32_f16 v10, v9, v10
	;; [unrolled: 1-line block ×3, first 2 shown]
	s_movk_i32 s14, 0x4000
	v_pk_add_f16 v2, v14, v2 neg_lo:[0,1] neg_hi:[0,1]
	v_pack_b32_f16 v23, v36, v33
	v_pack_b32_f16 v21, v34, v37
	ds_write_b128 v84, v[8:11]
	v_pack_b32_f16 v9, v61, v62
	v_pack_b32_f16 v8, v7, v12
	;; [unrolled: 1-line block ×3, first 2 shown]
	v_lshlrev_b32_e32 v11, 5, v4
	ds_write_b128 v83, v[20:23] offset:16
	ds_write_b128 v84, v[6:9] offset:16
	s_and_saveexec_b64 s[8:9], s[2:3]
	s_cbranch_execz .LBB0_7
; %bb.6:
	s_mov_b32 s15, 0xffff
	v_bfi_b32 v4, s15, v48, v99
	v_fma_f16 v5, v5, 2.0, -v49
	v_fma_f16 v7, v17, 2.0, -v82
	;; [unrolled: 1-line block ×4, first 2 shown]
	s_mov_b32 s15, 0x5040100
	v_pk_fma_f16 v6, v14, 2.0, v2 op_sel_hi:[1,0,1] neg_lo:[0,0,1] neg_hi:[0,0,1]
	v_pk_fma_f16 v8, v3, 2.0, v4 op_sel_hi:[1,0,1] neg_lo:[0,0,1] neg_hi:[0,0,1]
	v_pack_b32_f16 v9, v5, v7
	v_pack_b32_f16 v7, v10, v12
	v_perm_b32 v5, v82, v49, s15
	v_perm_b32 v3, v15, v47, s15
	ds_write_b128 v11, v[6:9]
	ds_write_b128 v11, v[2:5] offset:16
.LBB0_7:
	s_or_b64 exec, exec, s[8:9]
	v_and_b32_e32 v14, 7, v0
	v_mad_u64_u32 v[4:5], s[8:9], v14, 12, s[0:1]
	s_waitcnt lgkmcnt(0)
	s_barrier
	global_load_dwordx3 v[8:10], v[4:5], off
	ds_read2st64_b32 v[4:5], v40 offset1:8
	ds_read2st64_b32 v[6:7], v40 offset0:32 offset1:40
	ds_read2st64_b32 v[12:13], v40 offset0:64 offset1:80
	;; [unrolled: 1-line block ×8, first 2 shown]
	ds_read_b32 v3, v40 offset:36864
	ds_read_b32 v29, v40 offset:38912
	s_waitcnt lgkmcnt(9)
	v_lshrrev_b32_e32 v32, 16, v7
	s_waitcnt lgkmcnt(7)
	v_lshrrev_b32_e32 v65, 16, v16
	;; [unrolled: 2-line block ×4, first 2 shown]
	v_lshrrev_b32_e32 v33, 16, v13
	v_lshrrev_b32_e32 v34, 16, v17
	;; [unrolled: 1-line block ×3, first 2 shown]
	s_waitcnt lgkmcnt(0)
	v_lshrrev_b32_e32 v66, 16, v29
	v_lshrrev_b32_e32 v55, 16, v12
	;; [unrolled: 1-line block ×7, first 2 shown]
	s_movk_i32 s8, 0x7e0
	v_lshrrev_b32_e32 v36, 16, v5
	v_lshrrev_b32_e32 v51, 16, v19
	;; [unrolled: 1-line block ×4, first 2 shown]
	s_barrier
	v_lshrrev_b32_e32 v50, 16, v24
	v_lshrrev_b32_e32 v54, 16, v25
	s_mov_b32 s16, 0xbb9c
	s_mov_b32 s17, 0xb8b4
	s_movk_i32 s15, 0x34f2
	s_waitcnt vmcnt(0)
	v_mul_f16_sdwa v67, v32, v8 dst_sel:DWORD dst_unused:UNUSED_PAD src0_sel:DWORD src1_sel:WORD_1
	v_mul_f16_sdwa v105, v62, v10 dst_sel:DWORD dst_unused:UNUSED_PAD src0_sel:DWORD src1_sel:WORD_1
	;; [unrolled: 1-line block ×3, first 2 shown]
	v_fma_f16 v7, v7, v8, -v67
	v_fma_f16 v67, v3, v10, -v105
	v_mul_f16_sdwa v3, v3, v10 dst_sel:DWORD dst_unused:UNUSED_PAD src0_sel:DWORD src1_sel:WORD_1
	v_fma_f16 v3, v62, v10, v3
	v_mul_f16_sdwa v62, v64, v8 dst_sel:DWORD dst_unused:UNUSED_PAD src0_sel:DWORD src1_sel:WORD_1
	v_fma_f16 v62, v26, v8, -v62
	v_mul_f16_sdwa v26, v26, v8 dst_sel:DWORD dst_unused:UNUSED_PAD src0_sel:DWORD src1_sel:WORD_1
	v_fma_f16 v26, v64, v8, v26
	v_mul_f16_sdwa v64, v65, v9 dst_sel:DWORD dst_unused:UNUSED_PAD src0_sel:DWORD src1_sel:WORD_1
	v_fma_f16 v64, v16, v9, -v64
	v_mul_f16_sdwa v16, v16, v9 dst_sel:DWORD dst_unused:UNUSED_PAD src0_sel:DWORD src1_sel:WORD_1
	v_mul_f16_sdwa v69, v33, v9 dst_sel:DWORD dst_unused:UNUSED_PAD src0_sel:DWORD src1_sel:WORD_1
	;; [unrolled: 1-line block ×7, first 2 shown]
	v_fma_f16 v16, v65, v9, v16
	v_mul_f16_sdwa v65, v66, v10 dst_sel:DWORD dst_unused:UNUSED_PAD src0_sel:DWORD src1_sel:WORD_1
	v_mul_f16_sdwa v101, v55, v8 dst_sel:DWORD dst_unused:UNUSED_PAD src0_sel:DWORD src1_sel:WORD_1
	;; [unrolled: 1-line block ×3, first 2 shown]
	v_fma_f16 v32, v32, v8, v68
	v_fma_f16 v33, v33, v9, v85
	v_fma_f16 v13, v13, v9, -v69
	v_fma_f16 v17, v17, v10, -v86
	v_fma_f16 v34, v34, v10, v87
	v_fma_f16 v55, v55, v8, v102
	v_fma_f16 v27, v27, v9, -v103
	v_fma_f16 v65, v29, v10, -v65
	v_mul_f16_sdwa v29, v29, v10 dst_sel:DWORD dst_unused:UNUSED_PAD src0_sel:DWORD src1_sel:WORD_1
	v_fma_f16 v12, v12, v8, -v101
	v_fma_f16 v29, v66, v10, v29
	v_sub_f16_e32 v13, v4, v13
	v_sub_f16_e32 v33, v30, v33
	;; [unrolled: 1-line block ×6, first 2 shown]
	v_fma_f16 v4, v4, 2.0, -v13
	v_fma_f16 v30, v30, 2.0, -v33
	;; [unrolled: 1-line block ×4, first 2 shown]
	v_sub_f16_e32 v66, v12, v67
	v_fma_f16 v55, v55, 2.0, -v3
	v_sub_f16_e32 v67, v27, v3
	v_sub_f16_e32 v3, v6, v64
	;; [unrolled: 1-line block ×4, first 2 shown]
	v_mul_f16_sdwa v88, v37, v8 dst_sel:DWORD dst_unused:UNUSED_PAD src0_sel:DWORD src1_sel:WORD_1
	v_mul_f16_sdwa v89, v18, v8 dst_sel:DWORD dst_unused:UNUSED_PAD src0_sel:DWORD src1_sel:WORD_1
	;; [unrolled: 1-line block ×6, first 2 shown]
	v_sub_f16_e32 v7, v4, v7
	v_sub_f16_e32 v32, v30, v32
	;; [unrolled: 1-line block ×3, first 2 shown]
	v_add_f16_e32 v17, v33, v17
	v_fma_f16 v6, v6, 2.0, -v3
	v_fma_f16 v62, v62, 2.0, -v64
	;; [unrolled: 1-line block ×3, first 2 shown]
	v_sub_f16_e32 v29, v3, v29
	v_fma_f16 v18, v18, v8, -v88
	v_fma_f16 v37, v37, v8, v89
	v_fma_f16 v20, v20, v9, -v90
	v_fma_f16 v38, v38, v9, v91
	;; [unrolled: 2-line block ×3, first 2 shown]
	v_fma_f16 v4, v4, 2.0, -v7
	v_fma_f16 v30, v30, 2.0, -v32
	;; [unrolled: 1-line block ×4, first 2 shown]
	v_sub_f16_e32 v62, v6, v62
	v_fma_f16 v68, v3, 2.0, -v29
	v_and_or_b32 v3, v40, s8, v14
	v_sub_f16_e32 v20, v5, v20
	v_sub_f16_e32 v38, v36, v38
	;; [unrolled: 1-line block ×4, first 2 shown]
	v_fma_f16 v65, v6, 2.0, -v62
	v_lshlrev_b32_e32 v3, 2, v3
	v_pack_b32_f16 v4, v4, v30
	v_pack_b32_f16 v6, v13, v33
	v_mul_f16_sdwa v94, v51, v8 dst_sel:DWORD dst_unused:UNUSED_PAD src0_sel:DWORD src1_sel:WORD_1
	v_mul_f16_sdwa v95, v19, v8 dst_sel:DWORD dst_unused:UNUSED_PAD src0_sel:DWORD src1_sel:WORD_1
	;; [unrolled: 1-line block ×6, first 2 shown]
	v_fma_f16 v5, v5, 2.0, -v20
	v_fma_f16 v36, v36, 2.0, -v38
	;; [unrolled: 1-line block ×4, first 2 shown]
	ds_write2_b32 v3, v4, v6 offset1:8
	v_pack_b32_f16 v4, v7, v32
	v_pack_b32_f16 v6, v34, v17
	v_fma_f16 v19, v19, v8, -v94
	v_fma_f16 v51, v51, v8, v95
	v_fma_f16 v21, v21, v9, -v96
	v_fma_f16 v52, v52, v9, v97
	;; [unrolled: 2-line block ×3, first 2 shown]
	v_sub_f16_e32 v18, v5, v18
	v_sub_f16_e32 v37, v36, v37
	;; [unrolled: 1-line block ×3, first 2 shown]
	v_add_f16_e32 v22, v38, v22
	ds_write2_b32 v3, v4, v6 offset0:16 offset1:24
	v_lshlrev_b32_e32 v4, 2, v28
	s_movk_i32 s8, 0xfe0
	v_fma_f16 v5, v5, 2.0, -v18
	v_fma_f16 v36, v36, 2.0, -v37
	;; [unrolled: 1-line block ×4, first 2 shown]
	v_sub_f16_e32 v21, v24, v21
	v_sub_f16_e32 v52, v50, v52
	;; [unrolled: 1-line block ×4, first 2 shown]
	v_and_or_b32 v6, v4, s8, v14
	v_fma_f16 v24, v24, 2.0, -v21
	v_fma_f16 v50, v50, 2.0, -v52
	;; [unrolled: 1-line block ×4, first 2 shown]
	v_lshlrev_b32_e32 v85, 2, v6
	v_pack_b32_f16 v5, v5, v36
	v_pack_b32_f16 v6, v20, v38
	v_sub_f16_e32 v19, v24, v19
	v_sub_f16_e32 v51, v50, v51
	;; [unrolled: 1-line block ×3, first 2 shown]
	v_add_f16_e32 v23, v52, v23
	ds_write2_b32 v85, v5, v6 offset1:8
	v_pack_b32_f16 v5, v18, v37
	v_pack_b32_f16 v6, v41, v22
	s_movk_i32 s8, 0x17e0
	v_fma_f16 v61, v61, v9, v104
	v_fma_f16 v24, v24, 2.0, -v19
	v_fma_f16 v50, v50, 2.0, -v51
	;; [unrolled: 1-line block ×4, first 2 shown]
	ds_write2_b32 v85, v5, v6 offset0:16 offset1:24
	v_and_or_b32 v5, v39, s8, v14
	v_sub_f16_e32 v61, v54, v61
	v_lshlrev_b32_e32 v86, 2, v5
	v_pack_b32_f16 v5, v24, v50
	v_pack_b32_f16 v6, v21, v52
	v_fma_f16 v25, v25, 2.0, -v27
	v_fma_f16 v54, v54, 2.0, -v61
	;; [unrolled: 1-line block ×3, first 2 shown]
	ds_write2_b32 v86, v5, v6 offset1:8
	v_pack_b32_f16 v5, v19, v51
	v_pack_b32_f16 v6, v53, v23
	v_sub_f16_e32 v12, v25, v12
	v_sub_f16_e32 v55, v54, v55
	v_add_f16_e32 v66, v61, v66
	ds_write2_b32 v86, v5, v6 offset0:16 offset1:24
	v_or_b32_e32 v5, 0x1800, v40
	s_movk_i32 s8, 0x1fe0
	v_fma_f16 v25, v25, 2.0, -v12
	v_fma_f16 v54, v54, 2.0, -v55
	;; [unrolled: 1-line block ×4, first 2 shown]
	v_and_or_b32 v6, v5, s8, v14
	v_sub_f16_e32 v16, v63, v16
	v_lshlrev_b32_e32 v87, 2, v6
	v_pack_b32_f16 v6, v25, v54
	v_pack_b32_f16 v7, v27, v61
	v_fma_f16 v63, v63, 2.0, -v16
	ds_write2_b32 v87, v6, v7 offset1:8
	v_pack_b32_f16 v6, v12, v55
	v_pack_b32_f16 v7, v67, v66
	v_sub_f16_e32 v26, v63, v26
	v_add_f16_e32 v64, v16, v64
	ds_write2_b32 v87, v6, v7 offset0:16 offset1:24
	v_or_b32_e32 v6, 0x2000, v40
	s_movk_i32 s8, 0x27e0
	v_fma_f16 v63, v63, 2.0, -v26
	v_fma_f16 v16, v16, 2.0, -v64
	v_and_or_b32 v7, v6, s8, v14
	v_lshlrev_b32_e32 v88, 2, v7
	v_pack_b32_f16 v7, v65, v63
	v_pack_b32_f16 v12, v68, v16
	ds_write2_b32 v88, v7, v12 offset1:8
	v_pack_b32_f16 v7, v62, v26
	v_pack_b32_f16 v12, v29, v64
	ds_write2_b32 v88, v7, v12 offset0:16 offset1:24
	v_and_b32_e32 v7, 31, v0
	v_mad_u64_u32 v[12:13], s[8:9], v7, 12, s[0:1]
	s_waitcnt lgkmcnt(0)
	s_barrier
	global_load_dwordx3 v[12:14], v[12:13], off offset:96
	ds_read2st64_b32 v[16:17], v40 offset1:8
	ds_read2st64_b32 v[18:19], v40 offset0:32 offset1:40
	ds_read2st64_b32 v[20:21], v40 offset0:64 offset1:80
	;; [unrolled: 1-line block ×8, first 2 shown]
	s_waitcnt lgkmcnt(7)
	v_lshrrev_b32_e32 v34, 16, v19
	s_waitcnt lgkmcnt(6)
	v_lshrrev_b32_e32 v38, 16, v21
	;; [unrolled: 2-line block ×6, first 2 shown]
	v_lshrrev_b32_e32 v55, 16, v25
	v_lshrrev_b32_e32 v61, 16, v27
	;; [unrolled: 1-line block ×3, first 2 shown]
	ds_read_b32 v63, v40 offset:36864
	ds_read_b32 v67, v40 offset:38912
	v_lshrrev_b32_e32 v65, 16, v20
	s_waitcnt lgkmcnt(2)
	v_lshrrev_b32_e32 v66, 16, v37
	v_lshrrev_b32_e32 v89, 16, v36
	s_waitcnt lgkmcnt(1)
	v_lshrrev_b32_e32 v68, 16, v63
	;; [unrolled: 3-line block ×3, first 2 shown]
	v_lshrrev_b32_e32 v30, 16, v16
	v_lshrrev_b32_e32 v50, 16, v17
	s_movk_i32 s8, 0x780
	v_lshrrev_b32_e32 v69, 16, v18
	v_lshrrev_b32_e32 v54, 16, v32
	s_barrier
	v_lshrrev_b32_e32 v64, 16, v33
	s_waitcnt vmcnt(0)
	v_mul_f16_sdwa v92, v34, v12 dst_sel:DWORD dst_unused:UNUSED_PAD src0_sel:DWORD src1_sel:WORD_1
	v_fma_f16 v92, v19, v12, -v92
	v_mul_f16_sdwa v19, v19, v12 dst_sel:DWORD dst_unused:UNUSED_PAD src0_sel:DWORD src1_sel:WORD_1
	v_fma_f16 v19, v34, v12, v19
	v_mul_f16_sdwa v34, v38, v13 dst_sel:DWORD dst_unused:UNUSED_PAD src0_sel:DWORD src1_sel:WORD_1
	v_fma_f16 v34, v21, v13, -v34
	v_mul_f16_sdwa v21, v21, v13 dst_sel:DWORD dst_unused:UNUSED_PAD src0_sel:DWORD src1_sel:WORD_1
	v_fma_f16 v21, v38, v13, v21
	;; [unrolled: 4-line block ×15, first 2 shown]
	v_sub_f16_e32 v34, v16, v34
	v_sub_f16_e32 v21, v30, v21
	;; [unrolled: 1-line block ×4, first 2 shown]
	v_fma_f16 v16, v16, 2.0, -v34
	v_fma_f16 v30, v30, 2.0, -v21
	;; [unrolled: 1-line block ×4, first 2 shown]
	v_sub_f16_e32 v89, v18, v89
	v_sub_f16_e32 v67, v36, v67
	;; [unrolled: 1-line block ×5, first 2 shown]
	v_add_f16_e32 v38, v21, v38
	v_fma_f16 v36, v36, 2.0, -v67
	v_sub_f16_e32 v67, v89, v67
	v_fma_f16 v16, v16, 2.0, -v91
	v_fma_f16 v30, v30, 2.0, -v19
	;; [unrolled: 1-line block ×4, first 2 shown]
	v_sub_f16_e32 v51, v17, v51
	v_sub_f16_e32 v26, v50, v26
	;; [unrolled: 1-line block ×4, first 2 shown]
	v_fma_f16 v18, v18, 2.0, -v89
	v_fma_f16 v95, v89, 2.0, -v67
	v_and_or_b32 v89, v40, s8, v7
	v_fma_f16 v17, v17, 2.0, -v51
	v_fma_f16 v50, v50, 2.0, -v26
	;; [unrolled: 1-line block ×4, first 2 shown]
	v_lshlrev_b32_e32 v89, 2, v89
	v_pack_b32_f16 v16, v16, v30
	v_pack_b32_f16 v21, v34, v21
	v_sub_f16_e32 v41, v17, v41
	v_sub_f16_e32 v24, v50, v24
	;; [unrolled: 1-line block ×3, first 2 shown]
	v_add_f16_e32 v52, v26, v52
	ds_write2_b32 v89, v16, v21 offset1:32
	v_pack_b32_f16 v16, v91, v19
	v_pack_b32_f16 v19, v23, v38
	s_movk_i32 s8, 0xf80
	v_fma_f16 v17, v17, 2.0, -v41
	v_fma_f16 v50, v50, 2.0, -v24
	;; [unrolled: 1-line block ×4, first 2 shown]
	v_sub_f16_e32 v55, v32, v55
	v_sub_f16_e32 v27, v54, v27
	;; [unrolled: 1-line block ×6, first 2 shown]
	ds_write2_b32 v89, v16, v19 offset0:64 offset1:96
	v_and_or_b32 v16, v4, s8, v7
	v_fma_f16 v32, v32, 2.0, -v55
	v_fma_f16 v54, v54, 2.0, -v27
	;; [unrolled: 1-line block ×5, first 2 shown]
	v_add_f16_e32 v94, v22, v90
	v_lshlrev_b32_e32 v90, 2, v16
	v_pack_b32_f16 v16, v17, v50
	v_pack_b32_f16 v17, v51, v26
	v_sub_f16_e32 v53, v32, v53
	v_sub_f16_e32 v25, v54, v25
	;; [unrolled: 1-line block ×3, first 2 shown]
	v_add_f16_e32 v61, v27, v61
	ds_write2_b32 v90, v16, v17 offset1:32
	v_pack_b32_f16 v16, v41, v24
	v_pack_b32_f16 v17, v28, v52
	s_movk_i32 s8, 0x1780
	v_fma_f16 v32, v32, 2.0, -v53
	v_fma_f16 v54, v54, 2.0, -v25
	;; [unrolled: 1-line block ×4, first 2 shown]
	v_sub_f16_e32 v65, v33, v65
	v_sub_f16_e32 v37, v64, v37
	;; [unrolled: 1-line block ×4, first 2 shown]
	ds_write2_b32 v90, v16, v17 offset0:64 offset1:96
	v_and_or_b32 v16, v39, s8, v7
	v_fma_f16 v33, v33, 2.0, -v65
	v_fma_f16 v64, v64, 2.0, -v37
	;; [unrolled: 1-line block ×4, first 2 shown]
	v_lshlrev_b32_e32 v91, 2, v16
	v_pack_b32_f16 v16, v32, v54
	v_pack_b32_f16 v17, v55, v27
	v_sub_f16_e32 v62, v33, v62
	v_sub_f16_e32 v20, v64, v20
	;; [unrolled: 1-line block ×3, first 2 shown]
	v_add_f16_e32 v66, v37, v66
	ds_write2_b32 v91, v16, v17 offset1:32
	v_pack_b32_f16 v16, v53, v25
	v_pack_b32_f16 v17, v29, v61
	s_movk_i32 s8, 0x1f80
	v_fma_f16 v33, v33, 2.0, -v62
	v_fma_f16 v64, v64, 2.0, -v20
	;; [unrolled: 1-line block ×5, first 2 shown]
	ds_write2_b32 v91, v16, v17 offset0:64 offset1:96
	v_and_or_b32 v16, v5, s8, v7
	v_sub_f16_e32 v68, v18, v68
	v_sub_f16_e32 v36, v69, v36
	v_lshlrev_b32_e32 v92, 2, v16
	v_pack_b32_f16 v16, v33, v64
	v_pack_b32_f16 v17, v65, v37
	s_movk_i32 s8, 0x2780
	v_fma_f16 v18, v18, 2.0, -v68
	v_fma_f16 v69, v69, 2.0, -v36
	;; [unrolled: 1-line block ×3, first 2 shown]
	ds_write2_b32 v92, v16, v17 offset1:32
	v_pack_b32_f16 v16, v62, v20
	v_pack_b32_f16 v17, v63, v66
	v_and_or_b32 v7, v6, s8, v7
	ds_write2_b32 v92, v16, v17 offset0:64 offset1:96
	v_lshlrev_b32_e32 v93, 2, v7
	v_pack_b32_f16 v7, v18, v69
	v_pack_b32_f16 v16, v95, v22
	ds_write2_b32 v93, v7, v16 offset1:32
	v_pack_b32_f16 v7, v68, v36
	v_pack_b32_f16 v16, v67, v94
	ds_write2_b32 v93, v7, v16 offset0:64 offset1:96
	v_and_b32_e32 v7, 0x7f, v0
	v_mad_u64_u32 v[16:17], s[8:9], v7, 12, s[0:1]
	s_waitcnt lgkmcnt(0)
	s_barrier
	global_load_dwordx3 v[16:18], v[16:17], off offset:480
	ds_read2st64_b32 v[20:21], v40 offset1:8
	ds_read2st64_b32 v[22:23], v40 offset0:32 offset1:40
	ds_read2st64_b32 v[24:25], v40 offset0:64 offset1:80
	;; [unrolled: 1-line block ×8, first 2 shown]
	s_waitcnt lgkmcnt(7)
	v_lshrrev_b32_e32 v30, 16, v23
	s_waitcnt lgkmcnt(4)
	v_lshrrev_b32_e32 v54, 16, v28
	v_lshrrev_b32_e32 v63, 16, v29
	s_waitcnt lgkmcnt(3)
	v_lshrrev_b32_e32 v55, 16, v32
	;; [unrolled: 3-line block ×3, first 2 shown]
	ds_read_b32 v66, v40 offset:36864
	ds_read_b32 v94, v40 offset:38912
	v_lshrrev_b32_e32 v65, 16, v37
	v_lshrrev_b32_e32 v34, 16, v25
	;; [unrolled: 1-line block ×3, first 2 shown]
	s_waitcnt lgkmcnt(2)
	v_lshrrev_b32_e32 v69, 16, v53
	s_waitcnt lgkmcnt(1)
	v_lshrrev_b32_e32 v95, 16, v66
	v_lshrrev_b32_e32 v97, 16, v52
	v_lshrrev_b32_e32 v38, 16, v27
	v_lshrrev_b32_e32 v98, 16, v26
	s_waitcnt lgkmcnt(0)
	v_lshrrev_b32_e32 v100, 16, v94
	v_lshrrev_b32_e32 v19, 16, v20
	;; [unrolled: 1-line block ×3, first 2 shown]
	s_movk_i32 s9, 0x600
	s_movk_i32 s8, 0xe00
	v_lshrrev_b32_e32 v62, 16, v50
	v_lshrrev_b32_e32 v96, 16, v22
	s_barrier
	v_and_or_b32 v4, v4, s8, v7
	v_lshrrev_b32_e32 v67, 16, v51
	s_movk_i32 s8, 0x1600
	s_waitcnt vmcnt(0)
	v_mul_f16_sdwa v101, v30, v16 dst_sel:DWORD dst_unused:UNUSED_PAD src0_sel:DWORD src1_sel:WORD_1
	v_fma_f16 v101, v23, v16, -v101
	v_mul_f16_sdwa v23, v23, v16 dst_sel:DWORD dst_unused:UNUSED_PAD src0_sel:DWORD src1_sel:WORD_1
	v_fma_f16 v23, v30, v16, v23
	v_mul_f16_sdwa v30, v54, v16 dst_sel:DWORD dst_unused:UNUSED_PAD src0_sel:DWORD src1_sel:WORD_1
	v_fma_f16 v30, v28, v16, -v30
	v_mul_f16_sdwa v28, v28, v16 dst_sel:DWORD dst_unused:UNUSED_PAD src0_sel:DWORD src1_sel:WORD_1
	v_fma_f16 v28, v54, v16, v28
	v_mul_f16_sdwa v54, v63, v16 dst_sel:DWORD dst_unused:UNUSED_PAD src0_sel:DWORD src1_sel:WORD_1
	v_mul_f16_sdwa v102, v32, v17 dst_sel:DWORD dst_unused:UNUSED_PAD src0_sel:DWORD src1_sel:WORD_1
	v_fma_f16 v54, v29, v16, -v54
	v_mul_f16_sdwa v29, v29, v16 dst_sel:DWORD dst_unused:UNUSED_PAD src0_sel:DWORD src1_sel:WORD_1
	v_fma_f16 v102, v55, v17, v102
	v_mul_f16_sdwa v55, v55, v17 dst_sel:DWORD dst_unused:UNUSED_PAD src0_sel:DWORD src1_sel:WORD_1
	v_fma_f16 v32, v32, v17, -v55
	v_fma_f16 v29, v63, v16, v29
	v_mul_f16_sdwa v55, v64, v17 dst_sel:DWORD dst_unused:UNUSED_PAD src0_sel:DWORD src1_sel:WORD_1
	v_mul_f16_sdwa v63, v36, v18 dst_sel:DWORD dst_unused:UNUSED_PAD src0_sel:DWORD src1_sel:WORD_1
	v_fma_f16 v55, v33, v17, -v55
	v_mul_f16_sdwa v33, v33, v17 dst_sel:DWORD dst_unused:UNUSED_PAD src0_sel:DWORD src1_sel:WORD_1
	v_fma_f16 v63, v61, v18, v63
	v_mul_f16_sdwa v61, v61, v18 dst_sel:DWORD dst_unused:UNUSED_PAD src0_sel:DWORD src1_sel:WORD_1
	v_fma_f16 v36, v36, v18, -v61
	;; [unrolled: 8-line block ×3, first 2 shown]
	v_fma_f16 v34, v65, v18, v37
	v_mul_f16_sdwa v37, v68, v16 dst_sel:DWORD dst_unused:UNUSED_PAD src0_sel:DWORD src1_sel:WORD_1
	v_fma_f16 v37, v24, v16, -v37
	v_mul_f16_sdwa v24, v24, v16 dst_sel:DWORD dst_unused:UNUSED_PAD src0_sel:DWORD src1_sel:WORD_1
	v_fma_f16 v24, v68, v16, v24
	v_mul_f16_sdwa v65, v69, v17 dst_sel:DWORD dst_unused:UNUSED_PAD src0_sel:DWORD src1_sel:WORD_1
	v_mul_f16_sdwa v68, v95, v18 dst_sel:DWORD dst_unused:UNUSED_PAD src0_sel:DWORD src1_sel:WORD_1
	v_fma_f16 v65, v53, v17, -v65
	v_mul_f16_sdwa v53, v53, v17 dst_sel:DWORD dst_unused:UNUSED_PAD src0_sel:DWORD src1_sel:WORD_1
	v_fma_f16 v68, v66, v18, -v68
	v_mul_f16_sdwa v66, v66, v18 dst_sel:DWORD dst_unused:UNUSED_PAD src0_sel:DWORD src1_sel:WORD_1
	v_fma_f16 v53, v69, v17, v53
	v_fma_f16 v66, v95, v18, v66
	v_mul_f16_sdwa v69, v97, v16 dst_sel:DWORD dst_unused:UNUSED_PAD src0_sel:DWORD src1_sel:WORD_1
	v_mul_f16_sdwa v95, v27, v18 dst_sel:DWORD dst_unused:UNUSED_PAD src0_sel:DWORD src1_sel:WORD_1
	v_fma_f16 v69, v52, v16, -v69
	v_mul_f16_sdwa v52, v52, v16 dst_sel:DWORD dst_unused:UNUSED_PAD src0_sel:DWORD src1_sel:WORD_1
	v_fma_f16 v95, v38, v18, v95
	v_mul_f16_sdwa v38, v38, v18 dst_sel:DWORD dst_unused:UNUSED_PAD src0_sel:DWORD src1_sel:WORD_1
	v_fma_f16 v27, v27, v18, -v38
	v_fma_f16 v38, v97, v16, v52
	v_mul_f16_sdwa v52, v98, v17 dst_sel:DWORD dst_unused:UNUSED_PAD src0_sel:DWORD src1_sel:WORD_1
	v_mul_f16_sdwa v97, v100, v18 dst_sel:DWORD dst_unused:UNUSED_PAD src0_sel:DWORD src1_sel:WORD_1
	v_fma_f16 v52, v26, v17, -v52
	v_mul_f16_sdwa v26, v26, v17 dst_sel:DWORD dst_unused:UNUSED_PAD src0_sel:DWORD src1_sel:WORD_1
	v_fma_f16 v97, v94, v18, -v97
	v_mul_f16_sdwa v94, v94, v18 dst_sel:DWORD dst_unused:UNUSED_PAD src0_sel:DWORD src1_sel:WORD_1
	v_sub_f16_e32 v25, v20, v25
	v_sub_f16_e32 v64, v19, v64
	;; [unrolled: 1-line block ×4, first 2 shown]
	v_fma_f16 v26, v98, v17, v26
	v_fma_f16 v94, v100, v18, v94
	v_fma_f16 v20, v20, 2.0, -v25
	v_fma_f16 v19, v19, 2.0, -v64
	;; [unrolled: 1-line block ×4, first 2 shown]
	v_sub_f16_e32 v98, v20, v98
	v_sub_f16_e32 v23, v19, v23
	;; [unrolled: 1-line block ×3, first 2 shown]
	v_add_f16_e32 v27, v64, v27
	v_sub_f16_e32 v32, v21, v32
	v_sub_f16_e32 v100, v41, v102
	;; [unrolled: 1-line block ×6, first 2 shown]
	v_fma_f16 v20, v20, 2.0, -v98
	v_fma_f16 v19, v19, 2.0, -v23
	;; [unrolled: 1-line block ×9, first 2 shown]
	v_sub_f16_e32 v102, v52, v94
	v_and_or_b32 v94, v40, s9, v7
	v_sub_f16_e32 v30, v21, v30
	v_sub_f16_e32 v28, v41, v28
	;; [unrolled: 1-line block ×3, first 2 shown]
	v_add_f16_e32 v36, v100, v36
	v_lshlrev_b32_e32 v94, 2, v94
	v_pack_b32_f16 v19, v20, v19
	v_pack_b32_f16 v20, v25, v64
	v_fma_f16 v21, v21, 2.0, -v30
	v_fma_f16 v41, v41, 2.0, -v28
	;; [unrolled: 1-line block ×4, first 2 shown]
	v_sub_f16_e32 v55, v50, v55
	v_sub_f16_e32 v33, v62, v33
	;; [unrolled: 1-line block ×4, first 2 shown]
	ds_write2st64_b32 v94, v19, v20 offset1:2
	v_pack_b32_f16 v19, v98, v23
	v_pack_b32_f16 v20, v95, v27
	v_fma_f16 v50, v50, 2.0, -v55
	v_fma_f16 v62, v62, 2.0, -v33
	;; [unrolled: 1-line block ×4, first 2 shown]
	v_sub_f16_e32 v26, v96, v26
	ds_write2st64_b32 v94, v19, v20 offset0:4 offset1:6
	v_lshlrev_b32_e32 v95, 2, v4
	v_pack_b32_f16 v4, v21, v41
	v_pack_b32_f16 v19, v32, v100
	v_sub_f16_e32 v54, v50, v54
	v_sub_f16_e32 v29, v62, v29
	;; [unrolled: 1-line block ×3, first 2 shown]
	v_add_f16_e32 v61, v33, v61
	v_fma_f16 v96, v96, 2.0, -v26
	ds_write2st64_b32 v95, v4, v19 offset1:2
	v_pack_b32_f16 v4, v30, v28
	v_pack_b32_f16 v19, v63, v36
	v_fma_f16 v50, v50, 2.0, -v54
	v_fma_f16 v62, v62, 2.0, -v29
	;; [unrolled: 1-line block ×4, first 2 shown]
	v_sub_f16_e32 v65, v51, v65
	v_sub_f16_e32 v53, v67, v53
	;; [unrolled: 1-line block ×5, first 2 shown]
	ds_write2st64_b32 v95, v4, v19 offset0:4 offset1:6
	v_and_or_b32 v4, v39, s8, v7
	v_fma_f16 v51, v51, 2.0, -v65
	v_fma_f16 v67, v67, 2.0, -v53
	;; [unrolled: 1-line block ×5, first 2 shown]
	v_lshlrev_b32_e32 v96, 2, v4
	v_pack_b32_f16 v4, v50, v62
	v_pack_b32_f16 v19, v55, v33
	v_sub_f16_e32 v37, v51, v37
	v_sub_f16_e32 v24, v67, v24
	;; [unrolled: 1-line block ×3, first 2 shown]
	v_add_f16_e32 v68, v53, v68
	ds_write2st64_b32 v96, v4, v19 offset1:2
	v_pack_b32_f16 v4, v54, v29
	v_pack_b32_f16 v19, v34, v61
	s_movk_i32 s8, 0x1e00
	v_fma_f16 v51, v51, 2.0, -v37
	v_fma_f16 v67, v67, 2.0, -v24
	;; [unrolled: 1-line block ×4, first 2 shown]
	v_sub_f16_e32 v97, v69, v97
	ds_write2st64_b32 v96, v4, v19 offset0:4 offset1:6
	v_and_or_b32 v4, v5, s8, v7
	v_fma_f16 v22, v22, 2.0, -v52
	v_fma_f16 v69, v69, 2.0, -v97
	v_add_f16_e32 v103, v26, v97
	v_lshlrev_b32_e32 v97, 2, v4
	v_pack_b32_f16 v4, v51, v67
	v_pack_b32_f16 v5, v65, v53
	v_sub_f16_e32 v69, v22, v69
	ds_write2st64_b32 v97, v4, v5 offset1:2
	v_pack_b32_f16 v4, v37, v24
	v_pack_b32_f16 v5, v66, v68
	s_movk_i32 s8, 0x2600
	v_fma_f16 v22, v22, 2.0, -v69
	v_fma_f16 v52, v52, 2.0, -v102
	;; [unrolled: 1-line block ×3, first 2 shown]
	ds_write2st64_b32 v97, v4, v5 offset0:4 offset1:6
	v_and_or_b32 v4, v6, s8, v7
	v_lshlrev_b32_e32 v98, 2, v4
	v_pack_b32_f16 v4, v22, v101
	v_pack_b32_f16 v5, v52, v26
	ds_write2st64_b32 v98, v4, v5 offset1:2
	v_pack_b32_f16 v4, v69, v38
	v_pack_b32_f16 v5, v102, v103
	v_lshlrev_b32_e32 v22, 4, v0
	ds_write2st64_b32 v98, v4, v5 offset0:4 offset1:6
	s_waitcnt lgkmcnt(0)
	s_barrier
	global_load_dwordx4 v[4:7], v22, s[0:1] offset:2016
	ds_read2st64_b32 v[20:21], v40 offset0:32 offset1:40
	ds_read2st64_b32 v[24:25], v40 offset1:8
	ds_read2st64_b32 v[26:27], v40 offset0:64 offset1:80
	ds_read2st64_b32 v[28:29], v40 offset0:88 offset1:96
	;; [unrolled: 1-line block ×4, first 2 shown]
	s_waitcnt lgkmcnt(5)
	v_lshrrev_b32_e32 v19, 16, v20
	v_lshrrev_b32_e32 v38, 16, v21
	ds_read2st64_b32 v[50:51], v40 offset0:48 offset1:56
	s_waitcnt lgkmcnt(2)
	v_lshrrev_b32_e32 v34, 16, v32
	s_waitcnt lgkmcnt(1)
	v_lshrrev_b32_e32 v41, 16, v36
	v_lshrrev_b32_e32 v54, 16, v37
	ds_read_b32 v61, v40 offset:36864
	ds_read_b32 v65, v40 offset:38912
	v_lshrrev_b32_e32 v55, 16, v33
	v_lshrrev_b32_e32 v23, 16, v26
	s_waitcnt lgkmcnt(2)
	v_lshrrev_b32_e32 v62, 16, v50
	ds_read2st64_b32 v[52:53], v40 offset0:112 offset1:120
	v_lshrrev_b32_e32 v63, 16, v27
	s_waitcnt lgkmcnt(2)
	v_lshrrev_b32_e32 v66, 16, v61
	v_lshrrev_b32_e32 v67, 16, v51
	;; [unrolled: 1-line block ×4, first 2 shown]
	s_waitcnt lgkmcnt(0)
	v_lshrrev_b32_e32 v64, 16, v52
	v_lshrrev_b32_e32 v69, 16, v53
	v_lshrrev_b32_e32 v100, 16, v65
	s_movk_i32 s9, 0x3b9c
	s_movk_i32 s8, 0x38b4
	s_waitcnt vmcnt(0)
	v_mul_f16_sdwa v101, v19, v4 dst_sel:DWORD dst_unused:UNUSED_PAD src0_sel:DWORD src1_sel:WORD_1
	v_fma_f16 v101, v20, v4, -v101
	v_mul_f16_sdwa v20, v20, v4 dst_sel:DWORD dst_unused:UNUSED_PAD src0_sel:DWORD src1_sel:WORD_1
	v_fma_f16 v19, v19, v4, v20
	v_mul_f16_sdwa v20, v38, v4 dst_sel:DWORD dst_unused:UNUSED_PAD src0_sel:DWORD src1_sel:WORD_1
	v_fma_f16 v20, v21, v4, -v20
	v_mul_f16_sdwa v21, v21, v4 dst_sel:DWORD dst_unused:UNUSED_PAD src0_sel:DWORD src1_sel:WORD_1
	v_fma_f16 v21, v38, v4, v21
	;; [unrolled: 4-line block ×3, first 2 shown]
	v_mul_f16_sdwa v41, v54, v6 dst_sel:DWORD dst_unused:UNUSED_PAD src0_sel:DWORD src1_sel:WORD_1
	v_mul_f16_sdwa v102, v32, v7 dst_sel:DWORD dst_unused:UNUSED_PAD src0_sel:DWORD src1_sel:WORD_1
	v_fma_f16 v41, v37, v6, -v41
	v_mul_f16_sdwa v37, v37, v6 dst_sel:DWORD dst_unused:UNUSED_PAD src0_sel:DWORD src1_sel:WORD_1
	v_fma_f16 v102, v34, v7, v102
	v_mul_f16_sdwa v34, v34, v7 dst_sel:DWORD dst_unused:UNUSED_PAD src0_sel:DWORD src1_sel:WORD_1
	v_fma_f16 v32, v32, v7, -v34
	v_fma_f16 v34, v54, v6, v37
	v_mul_f16_sdwa v37, v55, v7 dst_sel:DWORD dst_unused:UNUSED_PAD src0_sel:DWORD src1_sel:WORD_1
	v_mul_f16_sdwa v54, v26, v5 dst_sel:DWORD dst_unused:UNUSED_PAD src0_sel:DWORD src1_sel:WORD_1
	v_fma_f16 v37, v33, v7, -v37
	v_mul_f16_sdwa v33, v33, v7 dst_sel:DWORD dst_unused:UNUSED_PAD src0_sel:DWORD src1_sel:WORD_1
	v_fma_f16 v54, v23, v5, v54
	v_mul_f16_sdwa v23, v23, v5 dst_sel:DWORD dst_unused:UNUSED_PAD src0_sel:DWORD src1_sel:WORD_1
	v_fma_f16 v23, v26, v5, -v23
	v_fma_f16 v26, v55, v7, v33
	v_mul_f16_sdwa v55, v50, v4 dst_sel:DWORD dst_unused:UNUSED_PAD src0_sel:DWORD src1_sel:WORD_1
	v_fma_f16 v55, v62, v4, v55
	v_mul_f16_sdwa v62, v62, v4 dst_sel:DWORD dst_unused:UNUSED_PAD src0_sel:DWORD src1_sel:WORD_1
	v_mul_f16_sdwa v33, v63, v5 dst_sel:DWORD dst_unused:UNUSED_PAD src0_sel:DWORD src1_sel:WORD_1
	v_fma_f16 v50, v50, v4, -v62
	v_mul_f16_sdwa v62, v66, v7 dst_sel:DWORD dst_unused:UNUSED_PAD src0_sel:DWORD src1_sel:WORD_1
	v_fma_f16 v33, v27, v5, -v33
	;; [unrolled: 2-line block ×3, first 2 shown]
	v_mul_f16_sdwa v61, v61, v7 dst_sel:DWORD dst_unused:UNUSED_PAD src0_sel:DWORD src1_sel:WORD_1
	v_fma_f16 v27, v63, v5, v27
	v_fma_f16 v61, v66, v7, v61
	v_mul_f16_sdwa v63, v67, v4 dst_sel:DWORD dst_unused:UNUSED_PAD src0_sel:DWORD src1_sel:WORD_1
	v_mul_f16_sdwa v66, v29, v6 dst_sel:DWORD dst_unused:UNUSED_PAD src0_sel:DWORD src1_sel:WORD_1
	v_fma_f16 v63, v51, v4, -v63
	v_mul_f16_sdwa v51, v51, v4 dst_sel:DWORD dst_unused:UNUSED_PAD src0_sel:DWORD src1_sel:WORD_1
	v_fma_f16 v66, v30, v6, v66
	v_mul_f16_sdwa v30, v30, v6 dst_sel:DWORD dst_unused:UNUSED_PAD src0_sel:DWORD src1_sel:WORD_1
	v_fma_f16 v29, v29, v6, -v30
	v_fma_f16 v30, v67, v4, v51
	v_mul_f16_sdwa v51, v68, v5 dst_sel:DWORD dst_unused:UNUSED_PAD src0_sel:DWORD src1_sel:WORD_1
	v_mul_f16_sdwa v67, v52, v6 dst_sel:DWORD dst_unused:UNUSED_PAD src0_sel:DWORD src1_sel:WORD_1
	v_fma_f16 v51, v28, v5, -v51
	v_mul_f16_sdwa v28, v28, v5 dst_sel:DWORD dst_unused:UNUSED_PAD src0_sel:DWORD src1_sel:WORD_1
	v_fma_f16 v67, v64, v6, v67
	v_mul_f16_sdwa v64, v64, v6 dst_sel:DWORD dst_unused:UNUSED_PAD src0_sel:DWORD src1_sel:WORD_1
	v_fma_f16 v52, v52, v6, -v64
	v_fma_f16 v28, v68, v5, v28
	v_mul_f16_sdwa v64, v69, v6 dst_sel:DWORD dst_unused:UNUSED_PAD src0_sel:DWORD src1_sel:WORD_1
	v_mul_f16_sdwa v68, v100, v7 dst_sel:DWORD dst_unused:UNUSED_PAD src0_sel:DWORD src1_sel:WORD_1
	v_fma_f16 v64, v53, v6, -v64
	v_mul_f16_sdwa v53, v53, v6 dst_sel:DWORD dst_unused:UNUSED_PAD src0_sel:DWORD src1_sel:WORD_1
	v_fma_f16 v68, v65, v7, -v68
	v_mul_f16_sdwa v65, v65, v7 dst_sel:DWORD dst_unused:UNUSED_PAD src0_sel:DWORD src1_sel:WORD_1
	v_fma_f16 v53, v69, v6, v53
	v_fma_f16 v65, v100, v7, v65
	v_sub_f16_e32 v69, v101, v23
	v_sub_f16_e32 v100, v32, v29
	v_add_f16_e32 v69, v69, v100
	v_add_f16_e32 v100, v23, v29
	v_fma_f16 v100, v100, -0.5, v24
	v_sub_f16_e32 v103, v19, v102
	v_fma_f16 v104, v103, s9, v100
	v_sub_f16_e32 v105, v54, v66
	v_fma_f16 v100, v103, s16, v100
	v_fma_f16 v104, v105, s8, v104
	;; [unrolled: 1-line block ×5, first 2 shown]
	v_sub_f16_e32 v100, v23, v101
	v_sub_f16_e32 v106, v29, v32
	v_add_f16_e32 v100, v100, v106
	v_add_f16_e32 v106, v101, v32
	v_fma_f16 v106, v106, -0.5, v24
	v_fma_f16 v107, v105, s16, v106
	v_fma_f16 v105, v105, s9, v106
	;; [unrolled: 1-line block ×6, first 2 shown]
	v_add_f16_e32 v103, v24, v101
	v_add_f16_e32 v103, v103, v23
	;; [unrolled: 1-line block ×4, first 2 shown]
	v_sub_f16_e32 v32, v101, v32
	v_sub_f16_e32 v23, v23, v29
	;; [unrolled: 1-line block ×4, first 2 shown]
	v_add_f16_e32 v29, v29, v101
	v_lshrrev_b32_e32 v24, 16, v24
	v_add_f16_e32 v101, v54, v66
	v_fma_f16 v101, v101, -0.5, v24
	v_fma_f16 v106, v32, s16, v101
	v_fma_f16 v101, v32, s9, v101
	;; [unrolled: 1-line block ×6, first 2 shown]
	v_add_f16_e32 v101, v19, v102
	v_fma_f16 v101, v101, -0.5, v24
	v_add_f16_e32 v24, v24, v19
	v_add_f16_e32 v24, v24, v54
	v_sub_f16_e32 v19, v54, v19
	v_sub_f16_e32 v54, v66, v102
	v_add_f16_e32 v19, v19, v54
	v_fma_f16 v54, v23, s9, v101
	v_fma_f16 v23, v23, s16, v101
	v_add_f16_e32 v24, v24, v66
	v_fma_f16 v54, v32, s17, v54
	v_fma_f16 v23, v32, s8, v23
	;; [unrolled: 3-line block ×3, first 2 shown]
	v_add_f16_e32 v23, v38, v41
	v_sub_f16_e32 v101, v20, v38
	v_sub_f16_e32 v102, v37, v41
	v_fma_f16 v23, v23, -0.5, v25
	v_add_f16_e32 v101, v101, v102
	v_sub_f16_e32 v102, v21, v26
	v_fma_f16 v107, v102, s9, v23
	v_sub_f16_e32 v108, v36, v34
	v_fma_f16 v23, v102, s16, v23
	v_add_f16_e32 v54, v20, v37
	v_fma_f16 v107, v108, s8, v107
	v_fma_f16 v23, v108, s17, v23
	v_fma_f16 v54, v54, -0.5, v25
	v_fma_f16 v107, v101, s15, v107
	v_fma_f16 v101, v101, s15, v23
	v_sub_f16_e32 v23, v38, v20
	v_sub_f16_e32 v109, v41, v37
	v_add_f16_e32 v23, v23, v109
	v_fma_f16 v109, v108, s16, v54
	v_fma_f16 v54, v108, s9, v54
	v_lshrrev_b32_e32 v66, 16, v25
	v_add_f16_e32 v25, v25, v20
	v_fma_f16 v108, v102, s8, v109
	v_fma_f16 v54, v102, s17, v54
	;; [unrolled: 1-line block ×4, first 2 shown]
	v_add_f16_e32 v23, v25, v38
	v_add_f16_e32 v23, v23, v41
	v_add_f16_e32 v25, v23, v37
	v_sub_f16_e32 v20, v20, v37
	v_sub_f16_e32 v23, v38, v41
	;; [unrolled: 1-line block ×4, first 2 shown]
	v_add_f16_e32 v37, v37, v38
	v_add_f16_e32 v38, v36, v34
	v_fma_f16 v38, v38, -0.5, v66
	v_fma_f16 v41, v20, s16, v38
	v_fma_f16 v38, v20, s9, v38
	;; [unrolled: 1-line block ×6, first 2 shown]
	v_add_f16_e32 v38, v21, v26
	v_fma_f16 v38, v38, -0.5, v66
	v_add_f16_e32 v66, v66, v21
	v_add_f16_e32 v66, v66, v36
	v_sub_f16_e32 v21, v36, v21
	v_add_f16_e32 v36, v66, v34
	v_add_f16_e32 v36, v36, v26
	v_sub_f16_e32 v26, v34, v26
	v_add_f16_e32 v21, v21, v26
	v_fma_f16 v26, v23, s9, v38
	v_fma_f16 v23, v23, s16, v38
	;; [unrolled: 1-line block ×6, first 2 shown]
	ds_read2st64_b32 v[20:21], v40 offset0:16 offset1:24
	v_pack_b32_f16 v23, v103, v24
	v_pack_b32_f16 v24, v104, v106
	s_waitcnt lgkmcnt(0)
	s_barrier
	ds_write2st64_b32 v40, v23, v24 offset1:8
	v_sub_f16_e32 v23, v50, v33
	v_sub_f16_e32 v24, v62, v52
	v_add_f16_e32 v23, v23, v24
	v_add_f16_e32 v24, v33, v52
	v_fma_f16 v24, v24, -0.5, v20
	v_sub_f16_e32 v38, v55, v61
	v_fma_f16 v66, v38, s9, v24
	v_sub_f16_e32 v103, v27, v67
	v_fma_f16 v24, v38, s16, v24
	v_fma_f16 v66, v103, s8, v66
	;; [unrolled: 1-line block ×5, first 2 shown]
	v_sub_f16_e32 v23, v33, v50
	v_sub_f16_e32 v104, v52, v62
	v_add_f16_e32 v23, v23, v104
	v_add_f16_e32 v104, v50, v62
	v_fma_f16 v104, v104, -0.5, v20
	v_fma_f16 v106, v103, s16, v104
	v_fma_f16 v103, v103, s9, v104
	;; [unrolled: 1-line block ×6, first 2 shown]
	v_add_f16_e32 v23, v20, v50
	v_add_f16_e32 v23, v23, v33
	;; [unrolled: 1-line block ×4, first 2 shown]
	v_sub_f16_e32 v23, v50, v62
	v_sub_f16_e32 v33, v33, v52
	;; [unrolled: 1-line block ×4, first 2 shown]
	v_add_f16_e32 v50, v50, v52
	v_lshrrev_b32_e32 v20, 16, v20
	v_add_f16_e32 v52, v27, v67
	v_fma_f16 v52, v52, -0.5, v20
	v_fma_f16 v62, v23, s16, v52
	v_fma_f16 v52, v23, s9, v52
	;; [unrolled: 1-line block ×6, first 2 shown]
	v_add_f16_e32 v52, v55, v61
	v_fma_f16 v52, v52, -0.5, v20
	v_add_f16_e32 v20, v20, v55
	v_add_f16_e32 v20, v20, v27
	v_add_f16_e32 v20, v20, v67
	v_sub_f16_e32 v27, v27, v55
	v_add_f16_e32 v55, v20, v61
	v_sub_f16_e32 v20, v67, v61
	v_add_f16_e32 v20, v27, v20
	v_fma_f16 v27, v33, s9, v52
	v_fma_f16 v33, v33, s16, v52
	v_fma_f16 v27, v23, s17, v27
	v_fma_f16 v23, v23, s8, v33
	v_fma_f16 v27, v20, s15, v27
	v_fma_f16 v33, v20, s15, v23
	v_add_f16_e32 v20, v51, v64
	v_sub_f16_e32 v61, v63, v51
	v_sub_f16_e32 v67, v68, v64
	v_fma_f16 v20, v20, -0.5, v21
	v_add_f16_e32 v61, v61, v67
	v_sub_f16_e32 v67, v30, v65
	v_fma_f16 v106, v67, s9, v20
	v_sub_f16_e32 v108, v28, v53
	v_fma_f16 v20, v67, s16, v20
	v_add_f16_e32 v23, v63, v68
	v_fma_f16 v106, v108, s8, v106
	v_fma_f16 v20, v108, s17, v20
	v_fma_f16 v23, v23, -0.5, v21
	v_fma_f16 v106, v61, s15, v106
	v_fma_f16 v61, v61, s15, v20
	v_sub_f16_e32 v20, v51, v63
	v_sub_f16_e32 v109, v64, v68
	v_add_f16_e32 v20, v20, v109
	v_fma_f16 v109, v108, s16, v23
	v_fma_f16 v23, v108, s9, v23
	v_lshrrev_b32_e32 v52, 16, v21
	v_add_f16_e32 v21, v21, v63
	v_fma_f16 v108, v67, s8, v109
	v_fma_f16 v23, v67, s17, v23
	v_fma_f16 v67, v20, s15, v108
	v_fma_f16 v108, v20, s15, v23
	v_add_f16_e32 v20, v21, v51
	v_sub_f16_e32 v21, v51, v64
	v_sub_f16_e32 v23, v30, v28
	;; [unrolled: 1-line block ×3, first 2 shown]
	v_add_f16_e32 v20, v20, v64
	v_add_f16_e32 v23, v23, v51
	;; [unrolled: 1-line block ×4, first 2 shown]
	v_sub_f16_e32 v20, v63, v68
	v_fma_f16 v51, v51, -0.5, v52
	v_fma_f16 v63, v20, s16, v51
	v_fma_f16 v51, v20, s9, v51
	;; [unrolled: 1-line block ×6, first 2 shown]
	v_add_f16_e32 v23, v30, v65
	v_fma_f16 v23, v23, -0.5, v52
	v_add_f16_e32 v52, v52, v30
	v_add_f16_e32 v52, v52, v28
	v_sub_f16_e32 v28, v28, v30
	v_add_f16_e32 v30, v52, v53
	v_sub_f16_e32 v52, v53, v65
	v_add_f16_e32 v28, v28, v52
	v_fma_f16 v52, v21, s9, v23
	v_fma_f16 v21, v21, s16, v23
	;; [unrolled: 1-line block ×5, first 2 shown]
	v_mov_b32_e32 v23, 0
	v_pack_b32_f16 v32, v105, v32
	v_pack_b32_f16 v19, v100, v19
	v_fma_f16 v28, v28, s15, v20
	v_lshl_add_u64 v[20:21], s[0:1], 0, v[22:23]
	ds_write2st64_b32 v40, v32, v19 offset0:16 offset1:24
	v_pack_b32_f16 v19, v69, v29
	v_pack_b32_f16 v22, v25, v36
	ds_write2st64_b32 v40, v19, v22 offset0:32 offset1:40
	v_pack_b32_f16 v19, v107, v41
	v_pack_b32_f16 v22, v102, v26
	;; [unrolled: 3-line block ×4, first 2 shown]
	v_add_f16_e32 v30, v30, v65
	v_pack_b32_f16 v22, v101, v37
	ds_write2st64_b32 v40, v19, v25 offset0:88 offset1:96
	v_pack_b32_f16 v19, v38, v33
	ds_write2st64_b32 v40, v22, v19 offset0:72 offset1:104
	v_pack_b32_f16 v19, v24, v50
	v_pack_b32_f16 v22, v109, v30
	ds_write2st64_b32 v40, v19, v22 offset0:112 offset1:120
	v_pack_b32_f16 v19, v106, v63
	v_pack_b32_f16 v22, v67, v52
	ds_write2st64_b32 v40, v19, v22 offset0:128 offset1:136
	v_pack_b32_f16 v19, v108, v28
	ds_write_b32 v40, v19 offset:36864
	v_pack_b32_f16 v19, v61, v51
	ds_write_b32 v40, v19 offset:38912
	v_sub_co_u32_e32 v19, vcc, v20, v40
	s_movk_i32 s8, 0x2000
	s_nop 0
	v_subbrev_co_u32_e32 v27, vcc, 0, v21, vcc
	v_add_co_u32_e32 v20, vcc, s8, v19
	s_waitcnt lgkmcnt(0)
	s_nop 0
	v_addc_co_u32_e32 v21, vcc, 0, v27, vcc
	s_barrier
	global_load_dwordx3 v[20:22], v[20:21], off offset:2016
	s_movk_i32 s8, 0x3000
	v_add_co_u32_e32 v24, vcc, s8, v19
	s_movk_i32 s0, 0x5000
	s_nop 0
	v_addc_co_u32_e32 v25, vcc, 0, v27, vcc
	global_load_dwordx3 v[24:26], v[24:25], off offset:4064
	v_add_co_u32_e32 v28, vcc, s0, v19
	ds_read2st64_b32 v[32:33], v40 offset1:8
	ds_read2st64_b32 v[50:51], v40 offset0:32 offset1:40
	v_addc_co_u32_e32 v29, vcc, 0, v27, vcc
	global_load_dwordx3 v[28:30], v[28:29], off offset:2016
	ds_read2st64_b32 v[52:53], v40 offset0:64 offset1:80
	ds_read2st64_b32 v[54:55], v40 offset0:112 offset1:120
	s_waitcnt lgkmcnt(2)
	v_lshrrev_b32_e32 v34, 16, v51
	ds_read2st64_b32 v[62:63], v40 offset0:48 offset1:56
	ds_read2st64_b32 v[64:65], v40 offset0:88 offset1:96
	;; [unrolled: 1-line block ×3, first 2 shown]
	s_movk_i32 s9, 0x6000
	s_waitcnt lgkmcnt(4)
	v_lshrrev_b32_e32 v37, 16, v53
	s_waitcnt lgkmcnt(3)
	v_lshrrev_b32_e32 v38, 16, v55
	s_waitcnt lgkmcnt(2)
	v_lshrrev_b32_e32 v61, 16, v62
	s_waitcnt lgkmcnt(1)
	v_lshrrev_b32_e32 v68, 16, v64
	v_lshrrev_b32_e32 v36, 16, v32
	v_lshrrev_b32_e32 v41, 16, v33
	s_waitcnt lgkmcnt(0)
	v_lshrrev_b32_e32 v69, 16, v66
	s_mov_b32 s15, 0x8000
	s_add_u32 s0, s12, 0xa000
	s_addc_u32 s1, s13, 0
	s_movk_i32 s16, 0x1000
	s_waitcnt vmcnt(2)
	v_mul_f16_sdwa v100, v34, v20 dst_sel:DWORD dst_unused:UNUSED_PAD src0_sel:DWORD src1_sel:WORD_1
	v_fma_f16 v100, v51, v20, -v100
	v_mul_f16_sdwa v51, v51, v20 dst_sel:DWORD dst_unused:UNUSED_PAD src0_sel:DWORD src1_sel:WORD_1
	v_fma_f16 v51, v34, v20, v51
	v_mul_f16_sdwa v34, v37, v21 dst_sel:DWORD dst_unused:UNUSED_PAD src0_sel:DWORD src1_sel:WORD_1
	v_fma_f16 v34, v53, v21, -v34
	v_mul_f16_sdwa v53, v53, v21 dst_sel:DWORD dst_unused:UNUSED_PAD src0_sel:DWORD src1_sel:WORD_1
	v_fma_f16 v37, v37, v21, v53
	;; [unrolled: 4-line block ×3, first 2 shown]
	s_waitcnt vmcnt(1)
	v_mul_f16_sdwa v55, v61, v24 dst_sel:DWORD dst_unused:UNUSED_PAD src0_sel:DWORD src1_sel:WORD_1
	v_fma_f16 v55, v62, v24, -v55
	v_mul_f16_sdwa v62, v62, v24 dst_sel:DWORD dst_unused:UNUSED_PAD src0_sel:DWORD src1_sel:WORD_1
	v_fma_f16 v61, v61, v24, v62
	v_mul_f16_sdwa v62, v68, v25 dst_sel:DWORD dst_unused:UNUSED_PAD src0_sel:DWORD src1_sel:WORD_1
	v_fma_f16 v62, v64, v25, -v62
	v_mul_f16_sdwa v64, v64, v25 dst_sel:DWORD dst_unused:UNUSED_PAD src0_sel:DWORD src1_sel:WORD_1
	v_fma_f16 v64, v68, v25, v64
	v_sub_f16_e32 v68, v32, v34
	v_fma_f16 v101, v32, 2.0, -v68
	v_sub_f16_e32 v102, v33, v62
	v_add_co_u32_e32 v32, vcc, s9, v19
	v_fma_f16 v62, v33, 2.0, -v102
	s_nop 0
	v_addc_co_u32_e32 v33, vcc, 0, v27, vcc
	global_load_dwordx3 v[32:34], v[32:33], off offset:4064
	v_mul_f16_sdwa v103, v66, v26 dst_sel:DWORD dst_unused:UNUSED_PAD src0_sel:DWORD src1_sel:WORD_1
	v_fma_f16 v103, v69, v26, v103
	v_mul_f16_sdwa v69, v69, v26 dst_sel:DWORD dst_unused:UNUSED_PAD src0_sel:DWORD src1_sel:WORD_1
	v_fma_f16 v66, v66, v26, -v69
	v_sub_f16_e32 v69, v36, v37
	v_sub_f16_e32 v105, v100, v53
	v_fma_f16 v104, v36, 2.0, -v69
	v_fma_f16 v36, v100, 2.0, -v105
	v_sub_f16_e32 v100, v101, v36
	v_add_co_u32_e32 v36, vcc, s15, v19
	v_sub_f16_e32 v106, v51, v38
	s_nop 0
	v_addc_co_u32_e32 v37, vcc, 0, v27, vcc
	global_load_dwordx3 v[36:38], v[36:37], off offset:2016
	v_sub_f16_e32 v53, v41, v64
	v_sub_f16_e32 v64, v55, v66
	;; [unrolled: 1-line block ×3, first 2 shown]
	v_fma_f16 v51, v51, 2.0, -v106
	v_fma_f16 v41, v41, 2.0, -v53
	;; [unrolled: 1-line block ×4, first 2 shown]
	v_sub_f16_e32 v19, v104, v51
	v_sub_f16_e32 v55, v62, v55
	;; [unrolled: 1-line block ×3, first 2 shown]
	v_fma_f16 v27, v101, 2.0, -v100
	v_fma_f16 v51, v104, 2.0, -v19
	;; [unrolled: 1-line block ×4, first 2 shown]
	v_pack_b32_f16 v27, v27, v51
	v_pack_b32_f16 v41, v62, v41
	ds_write2st64_b32 v40, v27, v41 offset1:8
	v_lshrrev_b32_e32 v27, 16, v63
	s_waitcnt vmcnt(2)
	v_mul_f16_sdwa v51, v63, v28 dst_sel:DWORD dst_unused:UNUSED_PAD src0_sel:DWORD src1_sel:WORD_1
	v_mul_f16_sdwa v41, v27, v28 dst_sel:DWORD dst_unused:UNUSED_PAD src0_sel:DWORD src1_sel:WORD_1
	v_fma_f16 v27, v27, v28, v51
	v_lshrrev_b32_e32 v51, 16, v65
	v_mul_f16_sdwa v62, v51, v29 dst_sel:DWORD dst_unused:UNUSED_PAD src0_sel:DWORD src1_sel:WORD_1
	v_fma_f16 v101, v65, v29, -v62
	v_mul_f16_sdwa v62, v65, v29 dst_sel:DWORD dst_unused:UNUSED_PAD src0_sel:DWORD src1_sel:WORD_1
	v_fma_f16 v51, v51, v29, v62
	v_lshrrev_b32_e32 v62, 16, v67
	v_fma_f16 v41, v63, v28, -v41
	v_mul_f16_sdwa v63, v62, v30 dst_sel:DWORD dst_unused:UNUSED_PAD src0_sel:DWORD src1_sel:WORD_1
	v_fma_f16 v65, v67, v30, -v63
	v_mul_f16_sdwa v63, v67, v30 dst_sel:DWORD dst_unused:UNUSED_PAD src0_sel:DWORD src1_sel:WORD_1
	v_fma_f16 v67, v62, v30, v63
	ds_read2st64_b32 v[62:63], v40 offset0:16 offset1:24
	v_sub_f16_e32 v66, v102, v66
	v_add_f16_e32 v64, v53, v64
	v_fma_f16 v102, v102, 2.0, -v66
	v_fma_f16 v53, v53, 2.0, -v64
	v_pack_b32_f16 v53, v102, v53
	s_waitcnt lgkmcnt(0)
	v_lshrrev_b32_e32 v102, 16, v62
	v_sub_f16_e32 v101, v62, v101
	v_sub_f16_e32 v51, v102, v51
	;; [unrolled: 1-line block ×5, first 2 shown]
	v_add_f16_e32 v104, v51, v65
	v_fma_f16 v107, v101, 2.0, -v103
	v_fma_f16 v108, v51, 2.0, -v104
	v_pack_b32_f16 v107, v107, v108
	ds_write2st64_b32 v40, v53, v107 offset0:48 offset1:56
	v_fma_f16 v51, v102, 2.0, -v51
	v_fma_f16 v41, v41, 2.0, -v65
	;; [unrolled: 1-line block ×3, first 2 shown]
	v_pack_b32_f16 v53, v55, v61
	v_fma_f16 v55, v62, 2.0, -v101
	v_sub_f16_e32 v41, v55, v41
	v_sub_f16_e32 v27, v51, v27
	v_pack_b32_f16 v61, v41, v27
	ds_write2st64_b32 v40, v53, v61 offset0:88 offset1:96
	v_pack_b32_f16 v53, v66, v64
	v_pack_b32_f16 v62, v103, v104
	v_lshrrev_b32_e32 v61, 16, v52
	ds_write2st64_b32 v40, v53, v62 offset0:128 offset1:136
	ds_read_b32 v62, v40 offset:36864
	ds_read_b32 v64, v40 offset:38912
	v_fma_f16 v27, v51, 2.0, -v27
	s_waitcnt vmcnt(1)
	v_mul_f16_sdwa v53, v61, v32 dst_sel:DWORD dst_unused:UNUSED_PAD src0_sel:DWORD src1_sel:WORD_1
	v_fma_f16 v65, v52, v32, -v53
	v_mul_f16_sdwa v52, v52, v32 dst_sel:DWORD dst_unused:UNUSED_PAD src0_sel:DWORD src1_sel:WORD_1
	v_fma_f16 v61, v61, v32, v52
	ds_read2st64_b32 v[52:53], v40 offset0:72 offset1:104
	s_waitcnt lgkmcnt(2)
	v_lshrrev_b32_e32 v66, 16, v62
	v_mul_f16_sdwa v67, v66, v34 dst_sel:DWORD dst_unused:UNUSED_PAD src0_sel:DWORD src1_sel:WORD_1
	v_fma_f16 v67, v62, v34, -v67
	v_mul_f16_sdwa v62, v62, v34 dst_sel:DWORD dst_unused:UNUSED_PAD src0_sel:DWORD src1_sel:WORD_1
	v_fma_f16 v62, v66, v34, v62
	s_waitcnt lgkmcnt(0)
	v_lshrrev_b32_e32 v66, 16, v53
	v_mul_f16_sdwa v101, v53, v33 dst_sel:DWORD dst_unused:UNUSED_PAD src0_sel:DWORD src1_sel:WORD_1
	v_fma_f16 v101, v66, v33, v101
	v_mul_f16_sdwa v66, v66, v33 dst_sel:DWORD dst_unused:UNUSED_PAD src0_sel:DWORD src1_sel:WORD_1
	v_fma_f16 v53, v53, v33, -v66
	v_lshrrev_b32_e32 v66, 16, v52
	s_waitcnt vmcnt(0)
	v_mul_f16_sdwa v102, v66, v36 dst_sel:DWORD dst_unused:UNUSED_PAD src0_sel:DWORD src1_sel:WORD_1
	v_fma_f16 v102, v52, v36, -v102
	v_mul_f16_sdwa v52, v52, v36 dst_sel:DWORD dst_unused:UNUSED_PAD src0_sel:DWORD src1_sel:WORD_1
	v_fma_f16 v52, v66, v36, v52
	v_lshrrev_b32_e32 v66, 16, v54
	v_mul_f16_sdwa v103, v66, v37 dst_sel:DWORD dst_unused:UNUSED_PAD src0_sel:DWORD src1_sel:WORD_1
	v_fma_f16 v103, v54, v37, -v103
	v_mul_f16_sdwa v54, v54, v37 dst_sel:DWORD dst_unused:UNUSED_PAD src0_sel:DWORD src1_sel:WORD_1
	v_fma_f16 v54, v66, v37, v54
	v_lshrrev_b32_e32 v66, 16, v64
	v_mul_f16_sdwa v104, v66, v38 dst_sel:DWORD dst_unused:UNUSED_PAD src0_sel:DWORD src1_sel:WORD_1
	v_fma_f16 v104, v64, v38, -v104
	v_mul_f16_sdwa v64, v64, v38 dst_sel:DWORD dst_unused:UNUSED_PAD src0_sel:DWORD src1_sel:WORD_1
	v_fma_f16 v64, v66, v38, v64
	v_sub_f16_e32 v51, v50, v103
	v_sub_f16_e32 v104, v102, v104
	v_fma_f16 v41, v55, 2.0, -v41
	v_sub_f16_e32 v55, v63, v53
	v_lshrrev_b32_e32 v103, 16, v50
	v_fma_f16 v50, v50, 2.0, -v51
	v_sub_f16_e32 v53, v52, v64
	v_fma_f16 v64, v102, 2.0, -v104
	v_fma_f16 v102, v52, 2.0, -v53
	v_sub_f16_e32 v52, v50, v64
	v_sub_f16_e32 v64, v68, v106
	v_add_f16_e32 v105, v69, v105
	v_lshrrev_b32_e32 v66, 16, v63
	v_fma_f16 v68, v68, 2.0, -v64
	v_fma_f16 v69, v69, 2.0, -v105
	v_pack_b32_f16 v68, v68, v69
	v_sub_f16_e32 v69, v66, v101
	v_sub_f16_e32 v67, v65, v67
	;; [unrolled: 1-line block ×3, first 2 shown]
	v_fma_f16 v63, v63, 2.0, -v55
	v_fma_f16 v66, v66, 2.0, -v69
	;; [unrolled: 1-line block ×4, first 2 shown]
	v_sub_f16_e32 v65, v63, v65
	v_sub_f16_e32 v61, v66, v61
	v_fma_f16 v63, v63, 2.0, -v65
	v_fma_f16 v66, v66, 2.0, -v61
	v_sub_f16_e32 v62, v55, v62
	v_add_f16_e32 v67, v69, v67
	v_sub_f16_e32 v54, v103, v54
	v_fma_f16 v55, v55, 2.0, -v62
	v_fma_f16 v69, v69, 2.0, -v67
	;; [unrolled: 1-line block ×3, first 2 shown]
	v_pack_b32_f16 v27, v41, v27
	v_pack_b32_f16 v41, v63, v66
	;; [unrolled: 1-line block ×3, first 2 shown]
	v_sub_f16_e32 v100, v101, v102
	ds_write2st64_b32 v40, v27, v41 offset0:16 offset1:24
	v_pack_b32_f16 v27, v55, v69
	v_sub_f16_e32 v53, v51, v53
	v_fma_f16 v50, v50, 2.0, -v52
	v_fma_f16 v101, v101, 2.0, -v100
	v_add_f16_e32 v102, v54, v104
	ds_write2st64_b32 v40, v27, v19 offset0:64 offset1:80
	v_pack_b32_f16 v27, v62, v67
	v_fma_f16 v51, v51, 2.0, -v53
	v_fma_f16 v103, v54, 2.0, -v102
	ds_write_b32 v40, v27 offset:36864
	v_pack_b32_f16 v27, v50, v101
	v_pack_b32_f16 v19, v65, v61
	ds_write2st64_b32 v40, v27, v68 offset0:32 offset1:40
	v_pack_b32_f16 v27, v51, v103
	v_pack_b32_f16 v64, v64, v105
	ds_write2st64_b32 v40, v27, v19 offset0:72 offset1:104
	v_pack_b32_f16 v19, v52, v100
	ds_write2st64_b32 v40, v19, v64 offset0:112 offset1:120
	v_pack_b32_f16 v19, v53, v102
	ds_write_b32 v40, v19 offset:38912
	s_waitcnt lgkmcnt(0)
	s_barrier
	global_load_dword v19, v40, s[0:1]
	v_mov_b32_e32 v41, v23
	v_lshl_add_u64 v[54:55], s[0:1], 0, v[40:41]
	v_add_co_u32_e32 v62, vcc, s16, v54
	s_nop 1
	v_addc_co_u32_e32 v63, vcc, 0, v55, vcc
	global_load_dword v23, v[62:63], off offset:1024
	global_load_dword v27, v40, s[0:1] offset:2048
	global_load_dword v41, v58, s[0:1]
	global_load_dword v66, v[62:63], off offset:3072
	v_add_co_u32_e32 v62, vcc, s8, v54
	s_nop 1
	v_addc_co_u32_e32 v63, vcc, 0, v55, vcc
	global_load_dword v67, v[62:63], off offset:3072
	global_load_dword v68, v57, s[0:1]
	global_load_dword v69, v60, s[0:1]
	v_add_co_u32_e32 v60, vcc, s9, v54
	ds_read2st64_b32 v[62:63], v40 offset1:8
	s_nop 0
	v_addc_co_u32_e32 v61, vcc, 0, v55, vcc
	v_add_co_u32_e32 v64, vcc, s14, v54
	global_load_dword v104, v[60:61], off offset:1024
	s_nop 0
	v_addc_co_u32_e32 v65, vcc, 0, v55, vcc
	global_load_dword v64, v[64:65], off offset:1024
	s_waitcnt lgkmcnt(0)
	v_lshrrev_b32_e32 v65, 16, v62
	global_load_dword v105, v59, s[0:1]
	global_load_dword v106, v56, s[0:1]
	;; [unrolled: 1-line block ×3, first 2 shown]
	v_add_co_u32_e32 v56, vcc, s15, v54
	s_waitcnt vmcnt(12)
	v_mul_f16_sdwa v108, v65, v19 dst_sel:DWORD dst_unused:UNUSED_PAD src0_sel:DWORD src1_sel:WORD_1
	v_addc_co_u32_e32 v57, vcc, 0, v55, vcc
	v_add_co_u32_e32 v58, vcc, 0x9000, v54
	v_fma_f16 v108, v62, v19, -v108
	v_mul_f16_sdwa v62, v62, v19 dst_sel:DWORD dst_unused:UNUSED_PAD src0_sel:DWORD src1_sel:WORD_1
	v_addc_co_u32_e32 v59, vcc, 0, v55, vcc
	v_fma_f16 v19, v65, v19, v62
	global_load_dword v46, v[58:59], off offset:1024
	v_pack_b32_f16 v19, v108, v19
	global_load_dword v108, v[60:61], off offset:3072
	global_load_dword v65, v[56:57], off offset:3072
	ds_read2st64_b32 v[58:59], v40 offset0:20 offset1:28
	s_waitcnt vmcnt(13)
	v_mul_f16_sdwa v61, v63, v27 dst_sel:DWORD dst_unused:UNUSED_PAD src0_sel:DWORD src1_sel:WORD_1
	s_waitcnt lgkmcnt(0)
	v_lshrrev_b32_e32 v56, 16, v58
	v_mul_f16_sdwa v57, v58, v23 dst_sel:DWORD dst_unused:UNUSED_PAD src0_sel:DWORD src1_sel:WORD_1
	v_fma_f16 v57, v56, v23, v57
	v_mul_f16_sdwa v56, v56, v23 dst_sel:DWORD dst_unused:UNUSED_PAD src0_sel:DWORD src1_sel:WORD_1
	v_fma_f16 v23, v58, v23, -v56
	v_pack_b32_f16 v23, v23, v57
	ds_read2st64_b32 v[56:57], v40 offset0:40 offset1:48
	v_lshrrev_b32_e32 v58, 16, v63
	v_mul_f16_sdwa v60, v58, v27 dst_sel:DWORD dst_unused:UNUSED_PAD src0_sel:DWORD src1_sel:WORD_1
	v_fma_f16 v60, v63, v27, -v60
	v_fma_f16 v27, v58, v27, v61
	s_waitcnt lgkmcnt(0)
	v_lshrrev_b32_e32 v58, 16, v56
	s_waitcnt vmcnt(12)
	v_mul_f16_sdwa v61, v56, v41 dst_sel:DWORD dst_unused:UNUSED_PAD src0_sel:DWORD src1_sel:WORD_1
	v_fma_f16 v61, v58, v41, v61
	v_mul_f16_sdwa v58, v58, v41 dst_sel:DWORD dst_unused:UNUSED_PAD src0_sel:DWORD src1_sel:WORD_1
	v_fma_f16 v41, v56, v41, -v58
	v_pack_b32_f16 v41, v41, v61
	v_pack_b32_f16 v27, v60, v27
	ds_read2st64_b32 v[60:61], v40 offset0:60 offset1:68
	ds_write2st64_b32 v40, v19, v27 offset1:8
	v_lshrrev_b32_e32 v19, 16, v59
	s_waitcnt vmcnt(11)
	v_mul_f16_sdwa v56, v59, v66 dst_sel:DWORD dst_unused:UNUSED_PAD src0_sel:DWORD src1_sel:WORD_1
	v_mul_f16_sdwa v27, v19, v66 dst_sel:DWORD dst_unused:UNUSED_PAD src0_sel:DWORD src1_sel:WORD_1
	v_fma_f16 v19, v19, v66, v56
	s_waitcnt lgkmcnt(1)
	v_lshrrev_b32_e32 v56, 16, v60
	s_waitcnt vmcnt(10)
	v_mul_f16_sdwa v58, v60, v67 dst_sel:DWORD dst_unused:UNUSED_PAD src0_sel:DWORD src1_sel:WORD_1
	v_fma_f16 v27, v59, v66, -v27
	v_fma_f16 v62, v56, v67, v58
	ds_read2st64_b32 v[58:59], v40 offset0:80 offset1:88
	v_pack_b32_f16 v19, v27, v19
	ds_write2st64_b32 v40, v23, v19 offset0:20 offset1:28
	v_mul_f16_sdwa v56, v56, v67 dst_sel:DWORD dst_unused:UNUSED_PAD src0_sel:DWORD src1_sel:WORD_1
	v_fma_f16 v56, v60, v67, -v56
	s_waitcnt lgkmcnt(1)
	v_lshrrev_b32_e32 v23, 16, v58
	s_waitcnt vmcnt(9)
	v_mul_f16_sdwa v27, v58, v68 dst_sel:DWORD dst_unused:UNUSED_PAD src0_sel:DWORD src1_sel:WORD_1
	v_fma_f16 v27, v23, v68, v27
	v_mul_f16_sdwa v23, v23, v68 dst_sel:DWORD dst_unused:UNUSED_PAD src0_sel:DWORD src1_sel:WORD_1
	v_fma_f16 v23, v58, v68, -v23
	v_pack_b32_f16 v19, v56, v62
	v_pack_b32_f16 v23, v23, v27
	v_lshrrev_b32_e32 v27, 16, v57
	ds_read2st64_b32 v[62:63], v40 offset0:100 offset1:108
	s_waitcnt vmcnt(8)
	v_mul_f16_sdwa v56, v27, v69 dst_sel:DWORD dst_unused:UNUSED_PAD src0_sel:DWORD src1_sel:WORD_1
	v_fma_f16 v56, v57, v69, -v56
	v_mul_f16_sdwa v57, v57, v69 dst_sel:DWORD dst_unused:UNUSED_PAD src0_sel:DWORD src1_sel:WORD_1
	v_fma_f16 v27, v27, v69, v57
	v_pack_b32_f16 v27, v56, v27
	s_waitcnt lgkmcnt(0)
	v_lshrrev_b32_e32 v57, 16, v62
	s_waitcnt vmcnt(7)
	v_mul_f16_sdwa v58, v62, v104 dst_sel:DWORD dst_unused:UNUSED_PAD src0_sel:DWORD src1_sel:WORD_1
	ds_write2st64_b32 v40, v41, v27 offset0:40 offset1:48
	v_lshrrev_b32_e32 v27, 16, v61
	v_fma_f16 v58, v57, v104, v58
	v_mul_f16_sdwa v57, v57, v104 dst_sel:DWORD dst_unused:UNUSED_PAD src0_sel:DWORD src1_sel:WORD_1
	s_waitcnt vmcnt(6)
	v_mul_f16_sdwa v41, v27, v64 dst_sel:DWORD dst_unused:UNUSED_PAD src0_sel:DWORD src1_sel:WORD_1
	v_mul_f16_sdwa v60, v61, v64 dst_sel:DWORD dst_unused:UNUSED_PAD src0_sel:DWORD src1_sel:WORD_1
	v_fma_f16 v57, v62, v104, -v57
	v_fma_f16 v41, v61, v64, -v41
	v_fma_f16 v27, v27, v64, v60
	v_pack_b32_f16 v58, v57, v58
	ds_read2st64_b32 v[56:57], v40 offset0:120 offset1:128
	v_pack_b32_f16 v27, v41, v27
	ds_write2st64_b32 v40, v19, v27 offset0:60 offset1:68
	v_lshrrev_b32_e32 v19, 16, v59
	s_waitcnt vmcnt(5)
	v_mul_f16_sdwa v27, v19, v105 dst_sel:DWORD dst_unused:UNUSED_PAD src0_sel:DWORD src1_sel:WORD_1
	v_mul_f16_sdwa v41, v59, v105 dst_sel:DWORD dst_unused:UNUSED_PAD src0_sel:DWORD src1_sel:WORD_1
	v_fma_f16 v27, v59, v105, -v27
	v_fma_f16 v19, v19, v105, v41
	v_pack_b32_f16 v19, v27, v19
	s_waitcnt lgkmcnt(1)
	v_lshrrev_b32_e32 v60, 16, v56
	s_waitcnt vmcnt(3)
	v_mul_f16_sdwa v61, v56, v107 dst_sel:DWORD dst_unused:UNUSED_PAD src0_sel:DWORD src1_sel:WORD_1
	ds_write2st64_b32 v40, v23, v19 offset0:80 offset1:88
	v_lshrrev_b32_e32 v19, 16, v63
	v_fma_f16 v61, v60, v107, v61
	v_mul_f16_sdwa v60, v60, v107 dst_sel:DWORD dst_unused:UNUSED_PAD src0_sel:DWORD src1_sel:WORD_1
	s_waitcnt vmcnt(1)
	v_mul_f16_sdwa v23, v19, v108 dst_sel:DWORD dst_unused:UNUSED_PAD src0_sel:DWORD src1_sel:WORD_1
	v_mul_f16_sdwa v27, v63, v108 dst_sel:DWORD dst_unused:UNUSED_PAD src0_sel:DWORD src1_sel:WORD_1
	v_fma_f16 v56, v56, v107, -v60
	v_fma_f16 v23, v63, v108, -v23
	v_fma_f16 v19, v19, v108, v27
	v_pack_b32_f16 v56, v56, v61
	ds_read2st64_b32 v[60:61], v40 offset0:140 offset1:148
	v_pack_b32_f16 v19, v23, v19
	ds_write2st64_b32 v40, v58, v19 offset0:100 offset1:108
	v_lshrrev_b32_e32 v19, 16, v57
	v_mul_f16_sdwa v23, v19, v106 dst_sel:DWORD dst_unused:UNUSED_PAD src0_sel:DWORD src1_sel:WORD_1
	v_mul_f16_sdwa v27, v57, v106 dst_sel:DWORD dst_unused:UNUSED_PAD src0_sel:DWORD src1_sel:WORD_1
	v_fma_f16 v23, v57, v106, -v23
	v_fma_f16 v19, v19, v106, v27
	v_pack_b32_f16 v19, v23, v19
	s_waitcnt lgkmcnt(1)
	v_lshrrev_b32_e32 v41, 16, v60
	s_waitcnt vmcnt(0)
	v_mul_f16_sdwa v64, v60, v65 dst_sel:DWORD dst_unused:UNUSED_PAD src0_sel:DWORD src1_sel:WORD_1
	ds_write2st64_b32 v40, v56, v19 offset0:120 offset1:128
	v_lshrrev_b32_e32 v19, 16, v61
	v_fma_f16 v64, v41, v65, v64
	v_mul_f16_sdwa v41, v41, v65 dst_sel:DWORD dst_unused:UNUSED_PAD src0_sel:DWORD src1_sel:WORD_1
	v_mul_f16_sdwa v23, v19, v46 dst_sel:DWORD dst_unused:UNUSED_PAD src0_sel:DWORD src1_sel:WORD_1
	;; [unrolled: 1-line block ×3, first 2 shown]
	v_fma_f16 v41, v60, v65, -v41
	v_fma_f16 v23, v61, v46, -v23
	v_fma_f16 v19, v19, v46, v27
	v_or_b32_e32 v62, 0xe00, v0
	v_or_b32_e32 v59, 0x1800, v0
	;; [unrolled: 1-line block ×3, first 2 shown]
	v_pack_b32_f16 v41, v41, v64
	v_pack_b32_f16 v19, v23, v19
	ds_write2st64_b32 v40, v41, v19 offset0:140 offset1:148
	v_lshlrev_b32_e32 v27, 2, v62
	v_lshlrev_b32_e32 v23, 2, v59
	;; [unrolled: 1-line block ×3, first 2 shown]
	s_and_saveexec_b64 s[8:9], s[2:3]
	s_cbranch_execz .LBB0_9
; %bb.8:
	v_add_co_u32_e32 v56, vcc, 0x2000, v54
	global_load_dword v41, v39, s[0:1]
	global_load_dword v46, v27, s[0:1]
	;; [unrolled: 1-line block ×4, first 2 shown]
	s_movk_i32 s0, 0x4000
	v_addc_co_u32_e32 v57, vcc, 0, v55, vcc
	v_add_co_u32_e32 v58, vcc, s0, v54
	s_movk_i32 s1, 0x7000
	s_nop 0
	v_addc_co_u32_e32 v59, vcc, 0, v55, vcc
	global_load_dword v64, v[56:57], off offset:1024
	global_load_dword v65, v[58:59], off offset:3072
	v_add_co_u32_e32 v56, vcc, s1, v54
	s_nop 1
	v_addc_co_u32_e32 v57, vcc, 0, v55, vcc
	v_add_co_u32_e32 v54, vcc, 0x9000, v54
	global_load_dword v66, v[56:57], off offset:1024
	s_nop 0
	v_addc_co_u32_e32 v55, vcc, 0, v55, vcc
	global_load_dword v67, v[54:55], off offset:3072
	ds_read2st64_b32 v[54:55], v40 offset0:16 offset1:36
	ds_read2st64_b32 v[56:57], v40 offset0:56 offset1:76
	ds_read2st64_b32 v[58:59], v40 offset0:96 offset1:116
	ds_read2st64_b32 v[60:61], v40 offset0:136 offset1:156
	s_waitcnt lgkmcnt(3)
	v_lshrrev_b32_e32 v68, 16, v54
	s_waitcnt lgkmcnt(2)
	v_lshrrev_b32_e32 v104, 16, v56
	s_waitcnt lgkmcnt(1)
	v_lshrrev_b32_e32 v106, 16, v58
	s_waitcnt lgkmcnt(0)
	v_lshrrev_b32_e32 v108, 16, v60
	v_lshrrev_b32_e32 v69, 16, v55
	v_lshrrev_b32_e32 v105, 16, v57
	;; [unrolled: 1-line block ×4, first 2 shown]
	s_waitcnt vmcnt(7)
	v_mul_f16_sdwa v110, v68, v41 dst_sel:DWORD dst_unused:UNUSED_PAD src0_sel:DWORD src1_sel:WORD_1
	v_mul_f16_sdwa v111, v54, v41 dst_sel:DWORD dst_unused:UNUSED_PAD src0_sel:DWORD src1_sel:WORD_1
	s_waitcnt vmcnt(6)
	v_mul_f16_sdwa v112, v104, v46 dst_sel:DWORD dst_unused:UNUSED_PAD src0_sel:DWORD src1_sel:WORD_1
	v_mul_f16_sdwa v113, v56, v46 dst_sel:DWORD dst_unused:UNUSED_PAD src0_sel:DWORD src1_sel:WORD_1
	s_waitcnt vmcnt(5)
	v_mul_f16_sdwa v114, v106, v62 dst_sel:DWORD dst_unused:UNUSED_PAD src0_sel:DWORD src1_sel:WORD_1
	v_mul_f16_sdwa v115, v58, v62 dst_sel:DWORD dst_unused:UNUSED_PAD src0_sel:DWORD src1_sel:WORD_1
	s_waitcnt vmcnt(4)
	v_mul_f16_sdwa v116, v108, v63 dst_sel:DWORD dst_unused:UNUSED_PAD src0_sel:DWORD src1_sel:WORD_1
	v_mul_f16_sdwa v117, v60, v63 dst_sel:DWORD dst_unused:UNUSED_PAD src0_sel:DWORD src1_sel:WORD_1
	v_fma_f16 v54, v54, v41, -v110
	v_fma_f16 v41, v68, v41, v111
	v_fma_f16 v56, v56, v46, -v112
	v_fma_f16 v46, v104, v46, v113
	;; [unrolled: 2-line block ×4, first 2 shown]
	v_pack_b32_f16 v41, v54, v41
	s_waitcnt vmcnt(3)
	v_mul_f16_sdwa v54, v69, v64 dst_sel:DWORD dst_unused:UNUSED_PAD src0_sel:DWORD src1_sel:WORD_1
	v_mul_f16_sdwa v68, v55, v64 dst_sel:DWORD dst_unused:UNUSED_PAD src0_sel:DWORD src1_sel:WORD_1
	v_pack_b32_f16 v46, v56, v46
	s_waitcnt vmcnt(2)
	v_mul_f16_sdwa v56, v105, v65 dst_sel:DWORD dst_unused:UNUSED_PAD src0_sel:DWORD src1_sel:WORD_1
	v_mul_f16_sdwa v104, v57, v65 dst_sel:DWORD dst_unused:UNUSED_PAD src0_sel:DWORD src1_sel:WORD_1
	;; [unrolled: 4-line block ×3, first 2 shown]
	v_pack_b32_f16 v60, v60, v63
	v_fma_f16 v54, v55, v64, -v54
	v_fma_f16 v55, v69, v64, v68
	v_fma_f16 v56, v57, v65, -v56
	v_fma_f16 v57, v105, v65, v104
	;; [unrolled: 2-line block ×3, first 2 shown]
	s_waitcnt vmcnt(0)
	v_mul_f16_sdwa v63, v109, v67 dst_sel:DWORD dst_unused:UNUSED_PAD src0_sel:DWORD src1_sel:WORD_1
	v_mul_f16_sdwa v64, v61, v67 dst_sel:DWORD dst_unused:UNUSED_PAD src0_sel:DWORD src1_sel:WORD_1
	v_pack_b32_f16 v54, v54, v55
	v_pack_b32_f16 v55, v56, v57
	;; [unrolled: 1-line block ×3, first 2 shown]
	v_fma_f16 v57, v61, v67, -v63
	v_fma_f16 v59, v109, v67, v64
	ds_write2st64_b32 v40, v41, v54 offset0:16 offset1:36
	ds_write2st64_b32 v40, v46, v55 offset0:56 offset1:76
	;; [unrolled: 1-line block ×3, first 2 shown]
	v_pack_b32_f16 v41, v57, v59
	ds_write2st64_b32 v40, v60, v41 offset0:136 offset1:156
.LBB0_9:
	s_or_b64 exec, exec, s[8:9]
	s_waitcnt lgkmcnt(0)
	s_barrier
	ds_read2st64_b32 v[56:57], v40 offset1:8
	ds_read2st64_b32 v[54:55], v40 offset0:20 offset1:28
	ds_read2st64_b32 v[60:61], v40 offset0:40 offset1:48
	;; [unrolled: 1-line block ×7, first 2 shown]
	v_lshrrev_b32_e32 v104, 16, v99
	s_and_saveexec_b64 s[0:1], s[2:3]
	s_cbranch_execz .LBB0_11
; %bb.10:
	ds_read2st64_b32 v[50:51], v40 offset0:16 offset1:36
	ds_read2st64_b32 v[52:53], v40 offset0:56 offset1:76
	;; [unrolled: 1-line block ×4, first 2 shown]
	s_waitcnt lgkmcnt(3)
	v_lshrrev_b32_e32 v101, 16, v50
	v_lshrrev_b32_e32 v103, 16, v51
	s_waitcnt lgkmcnt(2)
	v_lshrrev_b32_e32 v100, 16, v52
	v_lshrrev_b32_e32 v102, 16, v53
	s_waitcnt lgkmcnt(1)
	v_lshrrev_b32_e32 v15, 16, v47
	s_waitcnt lgkmcnt(0)
	v_lshrrev_b32_e32 v104, 16, v48
	v_lshrrev_b32_e32 v82, 16, v49
	v_mov_b32_e32 v2, v46
.LBB0_11:
	s_or_b64 exec, exec, s[0:1]
	s_waitcnt lgkmcnt(3)
	v_pk_add_f16 v64, v56, v64 neg_lo:[0,1] neg_hi:[0,1]
	s_waitcnt lgkmcnt(2)
	v_pk_add_f16 v62, v54, v62 neg_lo:[0,1] neg_hi:[0,1]
	;; [unrolled: 2-line block ×4, first 2 shown]
	v_lshrrev_b32_e32 v106, 16, v64
	v_lshrrev_b32_e32 v110, 16, v62
	v_add_f16_sdwa v105, v64, v68 dst_sel:DWORD dst_unused:UNUSED_PAD src0_sel:DWORD src1_sel:WORD_1
	v_sub_f16_e32 v107, v106, v68
	v_add_f16_sdwa v109, v62, v66 dst_sel:DWORD dst_unused:UNUSED_PAD src0_sel:DWORD src1_sel:WORD_1
	v_sub_f16_e32 v111, v110, v66
	v_fma_f16 v108, v64, 2.0, -v105
	v_fma_f16 v106, v106, 2.0, -v107
	;; [unrolled: 1-line block ×4, first 2 shown]
	s_mov_b32 s8, 0xb9a8
	v_fma_f16 v113, v112, s8, v108
	v_fma_f16 v114, v110, s8, v106
	s_movk_i32 s9, 0x39a8
	v_fma_f16 v110, v110, s9, v113
	v_fma_f16 v112, v112, s8, v114
	;; [unrolled: 1-line block ×6, first 2 shown]
	v_pk_add_f16 v113, v57, v65 neg_lo:[0,1] neg_hi:[0,1]
	v_pk_add_f16 v114, v55, v63 neg_lo:[0,1] neg_hi:[0,1]
	v_pk_fma_f16 v56, v56, 2.0, v64 op_sel_hi:[1,0,1] neg_lo:[0,0,1] neg_hi:[0,0,1]
	v_pk_fma_f16 v60, v60, 2.0, v68 op_sel_hi:[1,0,1] neg_lo:[0,0,1] neg_hi:[0,0,1]
	;; [unrolled: 1-line block ×4, first 2 shown]
	v_pk_add_f16 v69, v61, v69 neg_lo:[0,1] neg_hi:[0,1]
	v_pk_add_f16 v115, v59, v67 neg_lo:[0,1] neg_hi:[0,1]
	v_lshrrev_b32_e32 v65, 16, v113
	v_lshrrev_b32_e32 v118, 16, v114
	v_pk_add_f16 v60, v56, v60 neg_lo:[0,1] neg_hi:[0,1]
	v_pk_add_f16 v58, v54, v58 neg_lo:[0,1] neg_hi:[0,1]
	v_sub_f16_e32 v67, v65, v69
	v_sub_f16_e32 v119, v118, v115
	v_pk_fma_f16 v56, v56, 2.0, v60 op_sel_hi:[1,0,1] neg_lo:[0,0,1] neg_hi:[0,0,1]
	v_pk_fma_f16 v54, v54, 2.0, v58 op_sel_hi:[1,0,1] neg_lo:[0,0,1] neg_hi:[0,0,1]
	v_add_f16_sdwa v63, v113, v69 dst_sel:DWORD dst_unused:UNUSED_PAD src0_sel:DWORD src1_sel:WORD_1
	v_fma_f16 v65, v65, 2.0, -v67
	v_add_f16_sdwa v117, v114, v115 dst_sel:DWORD dst_unused:UNUSED_PAD src0_sel:DWORD src1_sel:WORD_1
	v_fma_f16 v118, v118, 2.0, -v119
	v_pk_add_f16 v62, v56, v54 neg_lo:[0,1] neg_hi:[0,1]
	v_fma_f16 v116, v113, 2.0, -v63
	v_fma_f16 v120, v114, 2.0, -v117
	v_fma_f16 v122, v118, s8, v65
	v_pk_fma_f16 v64, v56, 2.0, v62 op_sel_hi:[1,0,1] neg_lo:[0,0,1] neg_hi:[0,0,1]
	v_lshrrev_b32_e32 v56, 16, v60
	v_fma_f16 v121, v120, s8, v116
	v_fma_f16 v120, v120, s8, v122
	;; [unrolled: 1-line block ×3, first 2 shown]
	v_add_f16_sdwa v54, v60, v58 dst_sel:DWORD dst_unused:UNUSED_PAD src0_sel:DWORD src1_sel:WORD_1
	v_sub_f16_e32 v58, v56, v58
	v_fma_f16 v108, v108, 2.0, -v110
	v_fma_f16 v106, v106, 2.0, -v112
	;; [unrolled: 1-line block ×4, first 2 shown]
	v_fma_f16 v118, v118, s9, v121
	v_fma_f16 v121, v65, 2.0, -v120
	v_fma_f16 v65, v117, s9, v63
	v_fma_f16 v117, v117, s8, v122
	v_fma_f16 v60, v60, 2.0, -v54
	v_fma_f16 v56, v56, 2.0, -v58
	v_fma_f16 v119, v119, s9, v65
	v_fma_f16 v123, v67, 2.0, -v117
	v_pack_b32_f16 v67, v105, v107
	v_pack_b32_f16 v66, v60, v56
	;; [unrolled: 1-line block ×3, first 2 shown]
	s_barrier
	ds_write_b128 v83, v[64:67]
	v_pack_b32_f16 v64, v54, v58
	v_pk_fma_f16 v54, v57, 2.0, v113 op_sel_hi:[1,0,1] neg_lo:[0,0,1] neg_hi:[0,0,1]
	v_pk_fma_f16 v56, v61, 2.0, v69 op_sel_hi:[1,0,1] neg_lo:[0,0,1] neg_hi:[0,0,1]
	;; [unrolled: 1-line block ×4, first 2 shown]
	v_pk_add_f16 v58, v54, v56 neg_lo:[0,1] neg_hi:[0,1]
	v_pk_add_f16 v57, v55, v57 neg_lo:[0,1] neg_hi:[0,1]
	v_lshrrev_b32_e32 v59, 16, v58
	v_pk_fma_f16 v56, v54, 2.0, v58 op_sel_hi:[1,0,1] neg_lo:[0,0,1] neg_hi:[0,0,1]
	v_pk_fma_f16 v54, v55, 2.0, v57 op_sel_hi:[1,0,1] neg_lo:[0,0,1] neg_hi:[0,0,1]
	v_add_f16_sdwa v55, v58, v57 dst_sel:DWORD dst_unused:UNUSED_PAD src0_sel:DWORD src1_sel:WORD_1
	v_sub_f16_e32 v60, v59, v57
	v_fma_f16 v116, v116, 2.0, -v118
	v_fma_f16 v122, v63, 2.0, -v119
	v_pk_add_f16 v54, v56, v54 neg_lo:[0,1] neg_hi:[0,1]
	v_fma_f16 v57, v58, 2.0, -v55
	v_fma_f16 v58, v59, 2.0, -v60
	v_pk_fma_f16 v56, v56, 2.0, v54 op_sel_hi:[1,0,1] neg_lo:[0,0,1] neg_hi:[0,0,1]
	v_pack_b32_f16 v59, v122, v123
	v_pack_b32_f16 v58, v57, v58
	;; [unrolled: 1-line block ×3, first 2 shown]
	v_or_b32_e32 v99, 0x6800, v40
	v_or_b32_e32 v46, 0x4800, v40
	;; [unrolled: 1-line block ×3, first 2 shown]
	v_pack_b32_f16 v65, v111, v109
	v_pack_b32_f16 v63, v110, v112
	ds_write_b128 v84, v[56:59]
	v_pack_b32_f16 v57, v119, v117
	v_pack_b32_f16 v56, v55, v60
	;; [unrolled: 1-line block ×3, first 2 shown]
	ds_write_b128 v83, v[62:65] offset:16
	ds_write_b128 v84, v[54:57] offset:16
	s_and_saveexec_b64 s[0:1], s[2:3]
	s_cbranch_execz .LBB0_13
; %bb.12:
	v_sub_f16_e32 v54, v100, v104
	v_sub_f16_e32 v55, v50, v2
	;; [unrolled: 1-line block ×4, first 2 shown]
	v_add_f16_e32 v56, v54, v55
	v_sub_f16_e32 v15, v103, v15
	v_sub_f16_e32 v49, v53, v49
	v_add_f16_e32 v59, v58, v47
	v_sub_f16_e32 v57, v15, v49
	v_fma_f16 v60, v59, s9, v56
	v_sub_f16_sdwa v2, v101, v2 dst_sel:DWORD dst_unused:UNUSED_PAD src0_sel:DWORD src1_sel:WORD_1
	v_sub_f16_e32 v48, v52, v48
	v_fma_f16 v60, v57, s9, v60
	v_sub_f16_e32 v62, v2, v48
	v_fma_f16 v50, v50, 2.0, -v55
	v_fma_f16 v48, v52, 2.0, -v48
	;; [unrolled: 1-line block ×8, first 2 shown]
	v_sub_f16_e32 v48, v50, v48
	v_sub_f16_e32 v58, v52, v58
	v_fma_f16 v67, v101, 2.0, -v2
	v_fma_f16 v49, v53, 2.0, -v49
	;; [unrolled: 1-line block ×3, first 2 shown]
	v_fma_f16 v56, v47, s8, v55
	v_fma_f16 v2, v2, 2.0, -v62
	v_add_f16_e32 v65, v58, v48
	v_fma_f16 v54, v100, 2.0, -v54
	v_sub_f16_e32 v49, v51, v49
	v_fma_f16 v56, v15, s9, v56
	v_fma_f16 v15, v15, s8, v2
	v_fma_f16 v66, v48, 2.0, -v65
	v_sub_f16_e32 v54, v67, v54
	v_fma_f16 v15, v47, s8, v15
	v_fma_f16 v47, v50, 2.0, -v48
	v_fma_f16 v48, v51, 2.0, -v49
	v_fma_f16 v63, v57, s9, v62
	v_sub_f16_e32 v53, v54, v49
	v_sub_f16_e32 v57, v47, v48
	v_fma_f16 v48, v67, 2.0, -v54
	v_fma_f16 v49, v52, 2.0, -v58
	v_fma_f16 v63, v59, s8, v63
	v_sub_f16_e32 v52, v48, v49
	v_fma_f16 v64, v62, 2.0, -v63
	v_fma_f16 v68, v54, 2.0, -v53
	;; [unrolled: 1-line block ×6, first 2 shown]
	v_pack_b32_f16 v51, v61, v64
	v_pack_b32_f16 v50, v66, v68
	;; [unrolled: 1-line block ×4, first 2 shown]
	ds_write_b128 v11, v[48:51]
	v_pack_b32_f16 v51, v60, v63
	v_pack_b32_f16 v50, v65, v53
	v_pack_b32_f16 v49, v56, v15
	v_pack_b32_f16 v48, v57, v52
	ds_write_b128 v11, v[48:51] offset:16
.LBB0_13:
	s_or_b64 exec, exec, s[0:1]
	s_waitcnt lgkmcnt(0)
	s_barrier
	ds_read2st64_b32 v[48:49], v40 offset1:8
	ds_read2st64_b32 v[50:51], v40 offset0:32 offset1:40
	ds_read2st64_b32 v[52:53], v40 offset0:64 offset1:80
	ds_read2st64_b32 v[54:55], v40 offset0:112 offset1:120
	ds_read2st64_b32 v[56:57], v40 offset0:48 offset1:56
	ds_read2st64_b32 v[58:59], v40 offset0:88 offset1:96
	ds_read2st64_b32 v[60:61], v40 offset0:128 offset1:136
	ds_read2st64_b32 v[62:63], v40 offset0:16 offset1:24
	ds_read_b32 v100, v99
	ds_read_b32 v101, v40 offset:36864
	s_waitcnt lgkmcnt(8)
	v_lshrrev_b32_e32 v11, 16, v51
	v_mul_f16_sdwa v111, v8, v11 dst_sel:DWORD dst_unused:UNUSED_PAD src0_sel:WORD_1 src1_sel:DWORD
	s_waitcnt lgkmcnt(7)
	v_lshrrev_b32_e32 v15, 16, v53
	v_fma_f16 v111, v8, v51, v111
	v_mul_f16_sdwa v51, v8, v51 dst_sel:DWORD dst_unused:UNUSED_PAD src0_sel:WORD_1 src1_sel:DWORD
	v_fma_f16 v11, v8, v11, -v51
	v_mul_f16_sdwa v51, v9, v15 dst_sel:DWORD dst_unused:UNUSED_PAD src0_sel:WORD_1 src1_sel:DWORD
	s_waitcnt lgkmcnt(6)
	v_lshrrev_b32_e32 v47, 16, v55
	v_fma_f16 v51, v9, v53, v51
	v_mul_f16_sdwa v53, v9, v53 dst_sel:DWORD dst_unused:UNUSED_PAD src0_sel:WORD_1 src1_sel:DWORD
	v_fma_f16 v15, v9, v15, -v53
	;; [unrolled: 6-line block ×5, first 2 shown]
	v_mul_f16_sdwa v66, v10, v67 dst_sel:DWORD dst_unused:UNUSED_PAD src0_sel:WORD_1 src1_sel:DWORD
	v_lshrrev_b32_e32 v69, 16, v57
	v_fma_f16 v66, v10, v60, v66
	v_mul_f16_sdwa v60, v10, v60 dst_sel:DWORD dst_unused:UNUSED_PAD src0_sel:WORD_1 src1_sel:DWORD
	v_fma_f16 v60, v10, v67, -v60
	v_mul_f16_sdwa v67, v8, v69 dst_sel:DWORD dst_unused:UNUSED_PAD src0_sel:WORD_1 src1_sel:DWORD
	v_lshrrev_b32_e32 v82, 16, v59
	v_fma_f16 v67, v8, v57, v67
	v_mul_f16_sdwa v57, v8, v57 dst_sel:DWORD dst_unused:UNUSED_PAD src0_sel:WORD_1 src1_sel:DWORD
	v_fma_f16 v57, v8, v69, -v57
	;; [unrolled: 5-line block ×4, first 2 shown]
	v_mul_f16_sdwa v83, v8, v102 dst_sel:DWORD dst_unused:UNUSED_PAD src0_sel:WORD_1 src1_sel:DWORD
	ds_read_b32 v103, v46
	ds_read_b32 v104, v41
	s_waitcnt lgkmcnt(3)
	v_lshrrev_b32_e32 v105, 16, v100
	v_fma_f16 v83, v8, v52, v83
	v_mul_f16_sdwa v52, v8, v52 dst_sel:DWORD dst_unused:UNUSED_PAD src0_sel:WORD_1 src1_sel:DWORD
	v_fma_f16 v52, v8, v102, -v52
	v_mul_f16_sdwa v102, v9, v105 dst_sel:DWORD dst_unused:UNUSED_PAD src0_sel:WORD_1 src1_sel:DWORD
	s_waitcnt lgkmcnt(2)
	v_lshrrev_b32_e32 v106, 16, v101
	v_fma_f16 v102, v9, v100, v102
	v_mul_f16_sdwa v100, v9, v100 dst_sel:DWORD dst_unused:UNUSED_PAD src0_sel:WORD_1 src1_sel:DWORD
	v_fma_f16 v100, v9, v105, -v100
	v_mul_f16_sdwa v105, v10, v106 dst_sel:DWORD dst_unused:UNUSED_PAD src0_sel:WORD_1 src1_sel:DWORD
	;; [unrolled: 6-line block ×3, first 2 shown]
	v_lshrrev_b32_e32 v109, 16, v54
	v_fma_f16 v106, v8, v103, v106
	v_mul_f16_sdwa v103, v8, v103 dst_sel:DWORD dst_unused:UNUSED_PAD src0_sel:WORD_1 src1_sel:DWORD
	v_fma_f16 v8, v8, v108, -v103
	v_mul_f16_sdwa v103, v9, v109 dst_sel:DWORD dst_unused:UNUSED_PAD src0_sel:WORD_1 src1_sel:DWORD
	s_waitcnt lgkmcnt(0)
	v_lshrrev_b32_e32 v110, 16, v104
	v_fma_f16 v103, v9, v54, v103
	v_mul_f16_sdwa v54, v9, v54 dst_sel:DWORD dst_unused:UNUSED_PAD src0_sel:WORD_1 src1_sel:DWORD
	v_lshrrev_b32_e32 v2, 16, v48
	v_fma_f16 v9, v9, v109, -v54
	v_mul_f16_sdwa v54, v10, v110 dst_sel:DWORD dst_unused:UNUSED_PAD src0_sel:WORD_1 src1_sel:DWORD
	v_fma_f16 v54, v10, v104, v54
	v_mul_f16_sdwa v104, v10, v104 dst_sel:DWORD dst_unused:UNUSED_PAD src0_sel:WORD_1 src1_sel:DWORD
	v_sub_f16_e32 v51, v48, v51
	v_sub_f16_e32 v15, v2, v15
	;; [unrolled: 1-line block ×4, first 2 shown]
	v_lshrrev_b32_e32 v64, 16, v49
	v_fma_f16 v10, v10, v110, -v104
	v_fma_f16 v48, v48, 2.0, -v51
	v_fma_f16 v2, v2, 2.0, -v15
	;; [unrolled: 1-line block ×4, first 2 shown]
	v_sub_f16_e32 v104, v48, v104
	v_sub_f16_e32 v11, v2, v11
	v_add_f16_e32 v47, v51, v47
	v_sub_f16_e32 v53, v15, v53
	v_sub_f16_e32 v65, v49, v65
	;; [unrolled: 1-line block ×5, first 2 shown]
	v_lshrrev_b32_e32 v68, 16, v62
	v_fma_f16 v48, v48, 2.0, -v104
	v_fma_f16 v2, v2, 2.0, -v11
	;; [unrolled: 1-line block ×8, first 2 shown]
	v_sub_f16_e32 v55, v49, v55
	v_sub_f16_e32 v56, v64, v56
	v_add_f16_e32 v60, v65, v60
	v_sub_f16_e32 v66, v58, v66
	v_sub_f16_e32 v69, v62, v69
	;; [unrolled: 1-line block ×5, first 2 shown]
	v_pack_b32_f16 v2, v48, v2
	v_pack_b32_f16 v15, v51, v15
	v_lshrrev_b32_e32 v84, 16, v63
	v_fma_f16 v49, v49, 2.0, -v55
	v_fma_f16 v64, v64, 2.0, -v56
	;; [unrolled: 1-line block ×8, first 2 shown]
	s_barrier
	ds_write2_b32 v3, v2, v15 offset1:8
	v_pack_b32_f16 v2, v104, v11
	v_pack_b32_f16 v11, v47, v53
	v_sub_f16_e32 v67, v62, v67
	v_sub_f16_e32 v57, v68, v57
	v_add_f16_e32 v61, v69, v61
	v_sub_f16_e32 v82, v59, v82
	v_sub_f16_e32 v102, v63, v102
	;; [unrolled: 1-line block ×5, first 2 shown]
	ds_write2_b32 v3, v2, v11 offset0:16 offset1:24
	v_pack_b32_f16 v2, v49, v64
	v_pack_b32_f16 v3, v65, v58
	v_lshrrev_b32_e32 v107, 16, v50
	v_fma_f16 v62, v62, 2.0, -v67
	v_fma_f16 v68, v68, 2.0, -v57
	v_fma_f16 v69, v69, 2.0, -v61
	v_fma_f16 v59, v59, 2.0, -v82
	v_fma_f16 v63, v63, 2.0, -v102
	v_fma_f16 v84, v84, 2.0, -v100
	v_fma_f16 v83, v83, 2.0, -v105
	v_fma_f16 v52, v52, 2.0, -v101
	ds_write2_b32 v85, v2, v3 offset1:8
	v_pack_b32_f16 v2, v55, v56
	v_pack_b32_f16 v3, v60, v66
	v_sub_f16_e32 v83, v63, v83
	v_sub_f16_e32 v52, v84, v52
	v_add_f16_e32 v101, v102, v101
	v_sub_f16_e32 v105, v100, v105
	v_sub_f16_e32 v103, v50, v103
	;; [unrolled: 1-line block ×5, first 2 shown]
	ds_write2_b32 v85, v2, v3 offset0:16 offset1:24
	v_pack_b32_f16 v2, v62, v68
	v_pack_b32_f16 v3, v69, v59
	v_fma_f16 v63, v63, 2.0, -v83
	v_fma_f16 v84, v84, 2.0, -v52
	;; [unrolled: 1-line block ×8, first 2 shown]
	ds_write2_b32 v86, v2, v3 offset1:8
	v_pack_b32_f16 v2, v67, v57
	v_pack_b32_f16 v3, v61, v82
	v_sub_f16_e32 v106, v50, v106
	v_sub_f16_e32 v8, v107, v8
	v_add_f16_e32 v10, v103, v10
	v_sub_f16_e32 v54, v9, v54
	ds_write2_b32 v86, v2, v3 offset0:16 offset1:24
	v_pack_b32_f16 v2, v63, v84
	v_pack_b32_f16 v3, v102, v100
	v_fma_f16 v50, v50, 2.0, -v106
	v_fma_f16 v107, v107, 2.0, -v8
	;; [unrolled: 1-line block ×4, first 2 shown]
	ds_write2_b32 v87, v2, v3 offset1:8
	v_pack_b32_f16 v2, v83, v52
	v_pack_b32_f16 v3, v101, v105
	ds_write2_b32 v87, v2, v3 offset0:16 offset1:24
	v_pack_b32_f16 v2, v50, v107
	v_pack_b32_f16 v3, v103, v9
	ds_write2_b32 v88, v2, v3 offset1:8
	v_pack_b32_f16 v2, v106, v8
	v_pack_b32_f16 v3, v10, v54
	ds_write2_b32 v88, v2, v3 offset0:16 offset1:24
	s_waitcnt lgkmcnt(0)
	s_barrier
	ds_read2st64_b32 v[2:3], v40 offset1:8
	ds_read2st64_b32 v[8:9], v40 offset0:32 offset1:40
	ds_read2st64_b32 v[10:11], v40 offset0:64 offset1:80
	;; [unrolled: 1-line block ×7, first 2 shown]
	ds_read_b32 v69, v99
	ds_read_b32 v82, v40 offset:36864
	s_waitcnt lgkmcnt(8)
	v_lshrrev_b32_e32 v47, 16, v9
	v_mul_f16_sdwa v103, v12, v47 dst_sel:DWORD dst_unused:UNUSED_PAD src0_sel:WORD_1 src1_sel:DWORD
	s_waitcnt lgkmcnt(7)
	v_lshrrev_b32_e32 v58, 16, v11
	v_fma_f16 v103, v12, v9, v103
	v_mul_f16_sdwa v9, v12, v9 dst_sel:DWORD dst_unused:UNUSED_PAD src0_sel:WORD_1 src1_sel:DWORD
	v_fma_f16 v9, v12, v47, -v9
	v_mul_f16_sdwa v47, v13, v58 dst_sel:DWORD dst_unused:UNUSED_PAD src0_sel:WORD_1 src1_sel:DWORD
	s_waitcnt lgkmcnt(6)
	v_lshrrev_b32_e32 v59, 16, v49
	v_fma_f16 v47, v13, v11, v47
	v_mul_f16_sdwa v11, v13, v11 dst_sel:DWORD dst_unused:UNUSED_PAD src0_sel:WORD_1 src1_sel:DWORD
	v_fma_f16 v11, v13, v58, -v11
	;; [unrolled: 6-line block ×5, first 2 shown]
	v_mul_f16_sdwa v62, v14, v63 dst_sel:DWORD dst_unused:UNUSED_PAD src0_sel:WORD_1 src1_sel:DWORD
	v_lshrrev_b32_e32 v65, 16, v51
	v_fma_f16 v62, v14, v54, v62
	v_mul_f16_sdwa v54, v14, v54 dst_sel:DWORD dst_unused:UNUSED_PAD src0_sel:WORD_1 src1_sel:DWORD
	v_fma_f16 v54, v14, v63, -v54
	v_mul_f16_sdwa v63, v12, v65 dst_sel:DWORD dst_unused:UNUSED_PAD src0_sel:WORD_1 src1_sel:DWORD
	v_lshrrev_b32_e32 v66, 16, v53
	v_fma_f16 v63, v12, v51, v63
	v_mul_f16_sdwa v51, v12, v51 dst_sel:DWORD dst_unused:UNUSED_PAD src0_sel:WORD_1 src1_sel:DWORD
	v_fma_f16 v51, v12, v65, -v51
	;; [unrolled: 5-line block ×4, first 2 shown]
	v_mul_f16_sdwa v67, v12, v83 dst_sel:DWORD dst_unused:UNUSED_PAD src0_sel:WORD_1 src1_sel:DWORD
	ds_read_b32 v84, v46
	ds_read_b32 v85, v41
	s_waitcnt lgkmcnt(3)
	v_lshrrev_b32_e32 v86, 16, v69
	v_fma_f16 v67, v12, v10, v67
	v_mul_f16_sdwa v10, v12, v10 dst_sel:DWORD dst_unused:UNUSED_PAD src0_sel:WORD_1 src1_sel:DWORD
	v_fma_f16 v10, v12, v83, -v10
	v_mul_f16_sdwa v83, v13, v86 dst_sel:DWORD dst_unused:UNUSED_PAD src0_sel:WORD_1 src1_sel:DWORD
	s_waitcnt lgkmcnt(2)
	v_lshrrev_b32_e32 v87, 16, v82
	v_fma_f16 v83, v13, v69, v83
	v_mul_f16_sdwa v69, v13, v69 dst_sel:DWORD dst_unused:UNUSED_PAD src0_sel:WORD_1 src1_sel:DWORD
	v_fma_f16 v69, v13, v86, -v69
	v_mul_f16_sdwa v86, v14, v87 dst_sel:DWORD dst_unused:UNUSED_PAD src0_sel:WORD_1 src1_sel:DWORD
	;; [unrolled: 6-line block ×3, first 2 shown]
	v_lshrrev_b32_e32 v101, 16, v48
	v_fma_f16 v87, v12, v84, v87
	v_mul_f16_sdwa v84, v12, v84 dst_sel:DWORD dst_unused:UNUSED_PAD src0_sel:WORD_1 src1_sel:DWORD
	v_fma_f16 v12, v12, v100, -v84
	v_mul_f16_sdwa v84, v13, v101 dst_sel:DWORD dst_unused:UNUSED_PAD src0_sel:WORD_1 src1_sel:DWORD
	s_waitcnt lgkmcnt(0)
	v_lshrrev_b32_e32 v102, 16, v85
	v_fma_f16 v84, v13, v48, v84
	v_mul_f16_sdwa v48, v13, v48 dst_sel:DWORD dst_unused:UNUSED_PAD src0_sel:WORD_1 src1_sel:DWORD
	v_lshrrev_b32_e32 v15, 16, v2
	v_fma_f16 v13, v13, v101, -v48
	v_mul_f16_sdwa v48, v14, v102 dst_sel:DWORD dst_unused:UNUSED_PAD src0_sel:WORD_1 src1_sel:DWORD
	v_fma_f16 v48, v14, v85, v48
	v_mul_f16_sdwa v85, v14, v85 dst_sel:DWORD dst_unused:UNUSED_PAD src0_sel:WORD_1 src1_sel:DWORD
	v_sub_f16_e32 v47, v2, v47
	v_sub_f16_e32 v11, v15, v11
	;; [unrolled: 1-line block ×4, first 2 shown]
	v_lshrrev_b32_e32 v60, 16, v3
	v_fma_f16 v14, v14, v102, -v85
	v_fma_f16 v2, v2, 2.0, -v47
	v_fma_f16 v15, v15, 2.0, -v11
	;; [unrolled: 1-line block ×4, first 2 shown]
	v_sub_f16_e32 v85, v2, v85
	v_sub_f16_e32 v9, v15, v9
	v_add_f16_e32 v49, v47, v49
	v_sub_f16_e32 v58, v11, v58
	v_sub_f16_e32 v61, v3, v61
	v_sub_f16_e32 v52, v60, v52
	v_sub_f16_e32 v62, v59, v62
	v_sub_f16_e32 v54, v50, v54
	v_lshrrev_b32_e32 v64, 16, v56
	v_fma_f16 v2, v2, 2.0, -v85
	v_fma_f16 v15, v15, 2.0, -v9
	;; [unrolled: 1-line block ×8, first 2 shown]
	v_sub_f16_e32 v59, v3, v59
	v_sub_f16_e32 v50, v60, v50
	v_add_f16_e32 v54, v61, v54
	v_sub_f16_e32 v62, v52, v62
	v_sub_f16_e32 v65, v56, v65
	;; [unrolled: 1-line block ×5, first 2 shown]
	v_pack_b32_f16 v2, v2, v15
	v_pack_b32_f16 v11, v47, v11
	v_lshrrev_b32_e32 v68, 16, v57
	v_fma_f16 v3, v3, 2.0, -v59
	v_fma_f16 v60, v60, 2.0, -v50
	;; [unrolled: 1-line block ×8, first 2 shown]
	s_barrier
	ds_write2_b32 v89, v2, v11 offset1:32
	v_pack_b32_f16 v2, v85, v9
	v_pack_b32_f16 v9, v49, v58
	v_sub_f16_e32 v63, v56, v63
	v_sub_f16_e32 v51, v64, v51
	v_add_f16_e32 v55, v65, v55
	v_sub_f16_e32 v66, v53, v66
	v_sub_f16_e32 v83, v57, v83
	;; [unrolled: 1-line block ×5, first 2 shown]
	ds_write2_b32 v89, v2, v9 offset0:64 offset1:96
	v_pack_b32_f16 v2, v3, v60
	v_pack_b32_f16 v3, v61, v52
	v_lshrrev_b32_e32 v88, 16, v8
	v_fma_f16 v56, v56, 2.0, -v63
	v_fma_f16 v64, v64, 2.0, -v51
	;; [unrolled: 1-line block ×8, first 2 shown]
	ds_write2_b32 v90, v2, v3 offset1:32
	v_pack_b32_f16 v2, v59, v50
	v_pack_b32_f16 v3, v54, v62
	v_sub_f16_e32 v67, v57, v67
	v_sub_f16_e32 v10, v68, v10
	v_add_f16_e32 v82, v83, v82
	v_sub_f16_e32 v86, v69, v86
	v_sub_f16_e32 v84, v8, v84
	;; [unrolled: 1-line block ×5, first 2 shown]
	ds_write2_b32 v90, v2, v3 offset0:64 offset1:96
	v_pack_b32_f16 v2, v56, v64
	v_pack_b32_f16 v3, v65, v53
	v_fma_f16 v57, v57, 2.0, -v67
	v_fma_f16 v68, v68, 2.0, -v10
	;; [unrolled: 1-line block ×8, first 2 shown]
	ds_write2_b32 v91, v2, v3 offset1:32
	v_pack_b32_f16 v2, v63, v51
	v_pack_b32_f16 v3, v55, v66
	v_sub_f16_e32 v87, v8, v87
	v_sub_f16_e32 v12, v88, v12
	v_add_f16_e32 v14, v84, v14
	v_sub_f16_e32 v48, v13, v48
	ds_write2_b32 v91, v2, v3 offset0:64 offset1:96
	v_pack_b32_f16 v2, v57, v68
	v_pack_b32_f16 v3, v83, v69
	v_fma_f16 v8, v8, 2.0, -v87
	v_fma_f16 v88, v88, 2.0, -v12
	v_fma_f16 v84, v84, 2.0, -v14
	v_fma_f16 v13, v13, 2.0, -v48
	ds_write2_b32 v92, v2, v3 offset1:32
	v_pack_b32_f16 v2, v67, v10
	v_pack_b32_f16 v3, v82, v86
	ds_write2_b32 v92, v2, v3 offset0:64 offset1:96
	v_pack_b32_f16 v2, v8, v88
	v_pack_b32_f16 v3, v84, v13
	ds_write2_b32 v93, v2, v3 offset1:32
	v_pack_b32_f16 v2, v87, v12
	v_pack_b32_f16 v3, v14, v48
	ds_write2_b32 v93, v2, v3 offset0:64 offset1:96
	s_waitcnt lgkmcnt(0)
	s_barrier
	ds_read2st64_b32 v[2:3], v40 offset1:8
	ds_read2st64_b32 v[8:9], v40 offset0:32 offset1:40
	ds_read2st64_b32 v[10:11], v40 offset0:64 offset1:80
	;; [unrolled: 1-line block ×7, first 2 shown]
	ds_read_b32 v66, v99
	ds_read_b32 v67, v40 offset:36864
	s_waitcnt lgkmcnt(8)
	v_lshrrev_b32_e32 v54, 16, v9
	v_mul_f16_sdwa v89, v16, v54 dst_sel:DWORD dst_unused:UNUSED_PAD src0_sel:WORD_1 src1_sel:DWORD
	s_waitcnt lgkmcnt(7)
	v_lshrrev_b32_e32 v55, 16, v11
	v_fma_f16 v89, v16, v9, v89
	v_mul_f16_sdwa v9, v16, v9 dst_sel:DWORD dst_unused:UNUSED_PAD src0_sel:WORD_1 src1_sel:DWORD
	v_fma_f16 v9, v16, v54, -v9
	v_mul_f16_sdwa v54, v17, v55 dst_sel:DWORD dst_unused:UNUSED_PAD src0_sel:WORD_1 src1_sel:DWORD
	s_waitcnt lgkmcnt(6)
	v_lshrrev_b32_e32 v56, 16, v13
	v_fma_f16 v54, v17, v11, v54
	v_mul_f16_sdwa v11, v17, v11 dst_sel:DWORD dst_unused:UNUSED_PAD src0_sel:WORD_1 src1_sel:DWORD
	v_fma_f16 v11, v17, v55, -v11
	;; [unrolled: 6-line block ×5, first 2 shown]
	v_mul_f16_sdwa v59, v18, v60 dst_sel:DWORD dst_unused:UNUSED_PAD src0_sel:WORD_1 src1_sel:DWORD
	v_lshrrev_b32_e32 v62, 16, v15
	v_fma_f16 v59, v18, v50, v59
	v_mul_f16_sdwa v50, v18, v50 dst_sel:DWORD dst_unused:UNUSED_PAD src0_sel:WORD_1 src1_sel:DWORD
	v_fma_f16 v50, v18, v60, -v50
	v_mul_f16_sdwa v60, v16, v62 dst_sel:DWORD dst_unused:UNUSED_PAD src0_sel:WORD_1 src1_sel:DWORD
	v_lshrrev_b32_e32 v63, 16, v49
	v_fma_f16 v60, v16, v15, v60
	v_mul_f16_sdwa v15, v16, v15 dst_sel:DWORD dst_unused:UNUSED_PAD src0_sel:WORD_1 src1_sel:DWORD
	v_fma_f16 v15, v16, v62, -v15
	;; [unrolled: 5-line block ×4, first 2 shown]
	v_mul_f16_sdwa v64, v16, v68 dst_sel:DWORD dst_unused:UNUSED_PAD src0_sel:WORD_1 src1_sel:DWORD
	ds_read_b32 v69, v46
	ds_read_b32 v82, v41
	s_waitcnt lgkmcnt(3)
	v_lshrrev_b32_e32 v83, 16, v66
	v_fma_f16 v64, v16, v10, v64
	v_mul_f16_sdwa v10, v16, v10 dst_sel:DWORD dst_unused:UNUSED_PAD src0_sel:WORD_1 src1_sel:DWORD
	v_fma_f16 v10, v16, v68, -v10
	v_mul_f16_sdwa v68, v17, v83 dst_sel:DWORD dst_unused:UNUSED_PAD src0_sel:WORD_1 src1_sel:DWORD
	s_waitcnt lgkmcnt(2)
	v_lshrrev_b32_e32 v84, 16, v67
	v_fma_f16 v68, v17, v66, v68
	v_mul_f16_sdwa v66, v17, v66 dst_sel:DWORD dst_unused:UNUSED_PAD src0_sel:WORD_1 src1_sel:DWORD
	v_fma_f16 v66, v17, v83, -v66
	v_mul_f16_sdwa v83, v18, v84 dst_sel:DWORD dst_unused:UNUSED_PAD src0_sel:WORD_1 src1_sel:DWORD
	;; [unrolled: 6-line block ×3, first 2 shown]
	v_lshrrev_b32_e32 v87, 16, v12
	v_fma_f16 v84, v16, v69, v84
	v_mul_f16_sdwa v69, v16, v69 dst_sel:DWORD dst_unused:UNUSED_PAD src0_sel:WORD_1 src1_sel:DWORD
	v_fma_f16 v16, v16, v86, -v69
	v_mul_f16_sdwa v69, v17, v87 dst_sel:DWORD dst_unused:UNUSED_PAD src0_sel:WORD_1 src1_sel:DWORD
	s_waitcnt lgkmcnt(0)
	v_lshrrev_b32_e32 v88, 16, v82
	v_fma_f16 v69, v17, v12, v69
	v_mul_f16_sdwa v12, v17, v12 dst_sel:DWORD dst_unused:UNUSED_PAD src0_sel:WORD_1 src1_sel:DWORD
	v_lshrrev_b32_e32 v47, 16, v2
	v_fma_f16 v12, v17, v87, -v12
	v_mul_f16_sdwa v17, v18, v88 dst_sel:DWORD dst_unused:UNUSED_PAD src0_sel:WORD_1 src1_sel:DWORD
	v_fma_f16 v17, v18, v82, v17
	v_mul_f16_sdwa v82, v18, v82 dst_sel:DWORD dst_unused:UNUSED_PAD src0_sel:WORD_1 src1_sel:DWORD
	v_sub_f16_e32 v54, v2, v54
	v_sub_f16_e32 v11, v47, v11
	;; [unrolled: 1-line block ×4, first 2 shown]
	v_lshrrev_b32_e32 v57, 16, v3
	v_fma_f16 v18, v18, v88, -v82
	v_fma_f16 v2, v2, 2.0, -v54
	v_fma_f16 v47, v47, 2.0, -v11
	;; [unrolled: 1-line block ×4, first 2 shown]
	v_sub_f16_e32 v82, v2, v82
	v_sub_f16_e32 v9, v47, v9
	v_add_f16_e32 v13, v54, v13
	v_sub_f16_e32 v55, v11, v55
	v_sub_f16_e32 v58, v3, v58
	;; [unrolled: 1-line block ×5, first 2 shown]
	v_lshrrev_b32_e32 v61, 16, v52
	v_fma_f16 v2, v2, 2.0, -v82
	v_fma_f16 v47, v47, 2.0, -v9
	;; [unrolled: 1-line block ×8, first 2 shown]
	v_sub_f16_e32 v56, v3, v56
	v_sub_f16_e32 v14, v57, v14
	v_add_f16_e32 v50, v58, v50
	v_sub_f16_e32 v59, v48, v59
	v_sub_f16_e32 v62, v52, v62
	v_sub_f16_e32 v49, v61, v49
	v_sub_f16_e32 v63, v60, v63
	v_sub_f16_e32 v51, v15, v51
	v_pack_b32_f16 v2, v2, v47
	v_pack_b32_f16 v11, v54, v11
	v_lshrrev_b32_e32 v65, 16, v53
	v_fma_f16 v3, v3, 2.0, -v56
	v_fma_f16 v57, v57, 2.0, -v14
	;; [unrolled: 1-line block ×8, first 2 shown]
	s_barrier
	ds_write2st64_b32 v94, v2, v11 offset1:2
	v_pack_b32_f16 v2, v82, v9
	v_pack_b32_f16 v9, v13, v55
	v_sub_f16_e32 v60, v52, v60
	v_sub_f16_e32 v15, v61, v15
	v_add_f16_e32 v51, v62, v51
	v_sub_f16_e32 v63, v49, v63
	v_sub_f16_e32 v68, v53, v68
	;; [unrolled: 1-line block ×5, first 2 shown]
	ds_write2st64_b32 v94, v2, v9 offset0:4 offset1:6
	v_pack_b32_f16 v2, v3, v57
	v_pack_b32_f16 v3, v58, v48
	v_lshrrev_b32_e32 v85, 16, v8
	v_fma_f16 v52, v52, 2.0, -v60
	v_fma_f16 v61, v61, 2.0, -v15
	;; [unrolled: 1-line block ×8, first 2 shown]
	ds_write2st64_b32 v95, v2, v3 offset1:2
	v_pack_b32_f16 v2, v56, v14
	v_pack_b32_f16 v3, v50, v59
	v_sub_f16_e32 v64, v53, v64
	v_sub_f16_e32 v10, v65, v10
	v_add_f16_e32 v67, v68, v67
	v_sub_f16_e32 v83, v66, v83
	v_sub_f16_e32 v69, v8, v69
	;; [unrolled: 1-line block ×5, first 2 shown]
	ds_write2st64_b32 v95, v2, v3 offset0:4 offset1:6
	v_pack_b32_f16 v2, v52, v61
	v_pack_b32_f16 v3, v62, v49
	v_fma_f16 v53, v53, 2.0, -v64
	v_fma_f16 v65, v65, 2.0, -v10
	;; [unrolled: 1-line block ×8, first 2 shown]
	ds_write2st64_b32 v96, v2, v3 offset1:2
	v_pack_b32_f16 v2, v60, v15
	v_pack_b32_f16 v3, v51, v63
	v_sub_f16_e32 v84, v8, v84
	v_sub_f16_e32 v16, v85, v16
	v_add_f16_e32 v18, v69, v18
	v_sub_f16_e32 v17, v12, v17
	ds_write2st64_b32 v96, v2, v3 offset0:4 offset1:6
	v_pack_b32_f16 v2, v53, v65
	v_pack_b32_f16 v3, v68, v66
	v_fma_f16 v8, v8, 2.0, -v84
	v_fma_f16 v85, v85, 2.0, -v16
	;; [unrolled: 1-line block ×4, first 2 shown]
	ds_write2st64_b32 v97, v2, v3 offset1:2
	v_pack_b32_f16 v2, v64, v10
	v_pack_b32_f16 v3, v67, v83
	ds_write2st64_b32 v97, v2, v3 offset0:4 offset1:6
	v_pack_b32_f16 v2, v8, v85
	v_pack_b32_f16 v3, v69, v12
	ds_write2st64_b32 v98, v2, v3 offset1:2
	v_pack_b32_f16 v2, v84, v16
	v_pack_b32_f16 v3, v18, v17
	ds_write2st64_b32 v98, v2, v3 offset0:4 offset1:6
	s_waitcnt lgkmcnt(0)
	s_barrier
	ds_read2st64_b32 v[8:9], v40 offset1:8
	ds_read2st64_b32 v[10:11], v40 offset0:32 offset1:40
	ds_read2st64_b32 v[12:13], v40 offset0:64 offset1:80
	;; [unrolled: 1-line block ×4, first 2 shown]
	ds_read_b32 v56, v46
	ds_read_b32 v57, v40 offset:36864
	ds_read_b32 v58, v41
	ds_read_b32 v59, v99
	s_waitcnt lgkmcnt(7)
	v_lshrrev_b32_e32 v47, 16, v10
	v_mul_f16_sdwa v86, v4, v47 dst_sel:DWORD dst_unused:UNUSED_PAD src0_sel:WORD_1 src1_sel:DWORD
	s_waitcnt lgkmcnt(6)
	v_lshrrev_b32_e32 v52, 16, v12
	v_fma_f16 v86, v4, v10, v86
	v_mul_f16_sdwa v10, v4, v10 dst_sel:DWORD dst_unused:UNUSED_PAD src0_sel:WORD_1 src1_sel:DWORD
	v_fma_f16 v10, v4, v47, -v10
	v_mul_f16_sdwa v47, v5, v52 dst_sel:DWORD dst_unused:UNUSED_PAD src0_sel:WORD_1 src1_sel:DWORD
	s_waitcnt lgkmcnt(5)
	v_lshrrev_b32_e32 v53, 16, v15
	v_fma_f16 v47, v5, v12, v47
	v_mul_f16_sdwa v12, v5, v12 dst_sel:DWORD dst_unused:UNUSED_PAD src0_sel:WORD_1 src1_sel:DWORD
	v_fma_f16 v12, v5, v52, -v12
	;; [unrolled: 6-line block ×3, first 2 shown]
	v_mul_f16_sdwa v53, v7, v54 dst_sel:DWORD dst_unused:UNUSED_PAD src0_sel:WORD_1 src1_sel:DWORD
	v_lshrrev_b32_e32 v60, 16, v11
	v_fma_f16 v53, v7, v16, v53
	v_mul_f16_sdwa v16, v7, v16 dst_sel:DWORD dst_unused:UNUSED_PAD src0_sel:WORD_1 src1_sel:DWORD
	v_fma_f16 v16, v7, v54, -v16
	v_mul_f16_sdwa v54, v4, v60 dst_sel:DWORD dst_unused:UNUSED_PAD src0_sel:WORD_1 src1_sel:DWORD
	s_waitcnt lgkmcnt(3)
	v_lshrrev_b32_e32 v61, 16, v56
	v_fma_f16 v54, v4, v11, v54
	v_mul_f16_sdwa v11, v4, v11 dst_sel:DWORD dst_unused:UNUSED_PAD src0_sel:WORD_1 src1_sel:DWORD
	ds_read2st64_b32 v[2:3], v40 offset0:16 offset1:24
	ds_read2st64_b32 v[48:49], v40 offset0:48 offset1:56
	v_fma_f16 v11, v4, v60, -v11
	v_mul_f16_sdwa v60, v5, v61 dst_sel:DWORD dst_unused:UNUSED_PAD src0_sel:WORD_1 src1_sel:DWORD
	s_waitcnt lgkmcnt(2)
	v_lshrrev_b32_e32 v62, 16, v59
	v_fma_f16 v60, v5, v56, v60
	v_mul_f16_sdwa v56, v5, v56 dst_sel:DWORD dst_unused:UNUSED_PAD src0_sel:WORD_1 src1_sel:DWORD
	v_fma_f16 v56, v5, v61, -v56
	v_mul_f16_sdwa v61, v6, v62 dst_sel:DWORD dst_unused:UNUSED_PAD src0_sel:WORD_1 src1_sel:DWORD
	v_lshrrev_b32_e32 v63, 16, v17
	v_fma_f16 v61, v6, v59, v61
	v_mul_f16_sdwa v59, v6, v59 dst_sel:DWORD dst_unused:UNUSED_PAD src0_sel:WORD_1 src1_sel:DWORD
	ds_read2st64_b32 v[50:51], v40 offset0:112 offset1:120
	v_fma_f16 v59, v6, v62, -v59
	v_mul_f16_sdwa v62, v7, v63 dst_sel:DWORD dst_unused:UNUSED_PAD src0_sel:WORD_1 src1_sel:DWORD
	s_waitcnt lgkmcnt(1)
	v_lshrrev_b32_e32 v65, 16, v48
	v_fma_f16 v62, v7, v17, v62
	v_mul_f16_sdwa v17, v7, v17 dst_sel:DWORD dst_unused:UNUSED_PAD src0_sel:WORD_1 src1_sel:DWORD
	v_fma_f16 v17, v7, v63, -v17
	v_mul_f16_sdwa v63, v4, v65 dst_sel:DWORD dst_unused:UNUSED_PAD src0_sel:WORD_1 src1_sel:DWORD
	v_lshrrev_b32_e32 v66, 16, v13
	v_fma_f16 v63, v4, v48, v63
	v_mul_f16_sdwa v48, v4, v48 dst_sel:DWORD dst_unused:UNUSED_PAD src0_sel:WORD_1 src1_sel:DWORD
	v_fma_f16 v48, v4, v65, -v48
	v_mul_f16_sdwa v65, v5, v66 dst_sel:DWORD dst_unused:UNUSED_PAD src0_sel:WORD_1 src1_sel:DWORD
	s_waitcnt lgkmcnt(0)
	v_lshrrev_b32_e32 v67, 16, v50
	v_fma_f16 v65, v5, v13, v65
	v_mul_f16_sdwa v13, v5, v13 dst_sel:DWORD dst_unused:UNUSED_PAD src0_sel:WORD_1 src1_sel:DWORD
	v_fma_f16 v13, v5, v66, -v13
	v_mul_f16_sdwa v66, v6, v67 dst_sel:DWORD dst_unused:UNUSED_PAD src0_sel:WORD_1 src1_sel:DWORD
	v_lshrrev_b32_e32 v68, 16, v57
	v_fma_f16 v66, v6, v50, v66
	v_mul_f16_sdwa v50, v6, v50 dst_sel:DWORD dst_unused:UNUSED_PAD src0_sel:WORD_1 src1_sel:DWORD
	v_fma_f16 v50, v6, v67, -v50
	v_mul_f16_sdwa v67, v7, v68 dst_sel:DWORD dst_unused:UNUSED_PAD src0_sel:WORD_1 src1_sel:DWORD
	;; [unrolled: 5-line block ×6, first 2 shown]
	v_add_f16_e32 v82, v47, v52
	v_fma_f16 v51, v7, v58, v51
	v_mul_f16_sdwa v58, v7, v58 dst_sel:DWORD dst_unused:UNUSED_PAD src0_sel:WORD_1 src1_sel:DWORD
	v_fma_f16 v82, v82, -0.5, v8
	v_sub_f16_e32 v83, v10, v16
	s_mov_b32 s1, 0xbb9c
	s_movk_i32 s9, 0x3b9c
	v_fma_f16 v7, v7, v85, -v58
	v_fma_f16 v84, v83, s1, v82
	v_sub_f16_e32 v85, v12, v15
	s_mov_b32 s0, 0xb8b4
	v_sub_f16_e32 v87, v86, v47
	v_sub_f16_e32 v88, v53, v52
	v_fma_f16 v82, v83, s9, v82
	s_movk_i32 s14, 0x38b4
	v_fma_f16 v84, v85, s0, v84
	v_add_f16_e32 v87, v87, v88
	s_movk_i32 s8, 0x34f2
	v_fma_f16 v82, v85, s14, v82
	v_add_f16_e32 v58, v8, v86
	v_fma_f16 v84, v87, s8, v84
	v_fma_f16 v82, v87, s8, v82
	v_add_f16_e32 v87, v86, v53
	v_lshrrev_b32_e32 v18, 16, v8
	v_add_f16_e32 v58, v58, v47
	v_fma_f16 v8, v87, -0.5, v8
	v_add_f16_e32 v58, v58, v52
	v_fma_f16 v87, v85, s9, v8
	v_fma_f16 v8, v85, s1, v8
	v_add_f16_e32 v85, v12, v15
	v_add_f16_e32 v58, v58, v53
	v_sub_f16_e32 v88, v47, v86
	v_sub_f16_e32 v89, v52, v53
	v_fma_f16 v85, v85, -0.5, v18
	v_sub_f16_e32 v53, v86, v53
	v_fma_f16 v87, v83, s0, v87
	v_add_f16_e32 v88, v88, v89
	v_fma_f16 v8, v83, s14, v8
	v_fma_f16 v86, v53, s9, v85
	v_sub_f16_e32 v47, v47, v52
	v_fma_f16 v87, v88, s8, v87
	v_fma_f16 v8, v88, s8, v8
	;; [unrolled: 1-line block ×3, first 2 shown]
	v_sub_f16_e32 v86, v10, v12
	v_sub_f16_e32 v88, v16, v15
	v_fma_f16 v85, v53, s1, v85
	v_add_f16_e32 v83, v18, v10
	v_add_f16_e32 v86, v86, v88
	v_fma_f16 v85, v47, s0, v85
	v_add_f16_e32 v83, v83, v12
	v_fma_f16 v52, v86, s8, v52
	v_fma_f16 v85, v86, s8, v85
	v_add_f16_e32 v86, v10, v16
	v_add_f16_e32 v83, v83, v15
	v_fma_f16 v18, v86, -0.5, v18
	v_add_f16_e32 v83, v83, v16
	v_fma_f16 v86, v47, s1, v18
	v_sub_f16_e32 v10, v12, v10
	v_sub_f16_e32 v12, v15, v16
	v_add_f16_e32 v16, v60, v61
	v_fma_f16 v86, v53, s14, v86
	v_add_f16_e32 v10, v10, v12
	v_fma_f16 v15, v47, s9, v18
	v_fma_f16 v16, v16, -0.5, v9
	v_sub_f16_e32 v18, v11, v17
	v_fma_f16 v12, v10, s8, v86
	v_fma_f16 v15, v53, s0, v15
	;; [unrolled: 1-line block ×3, first 2 shown]
	v_sub_f16_e32 v53, v56, v59
	v_sub_f16_e32 v86, v54, v60
	;; [unrolled: 1-line block ×3, first 2 shown]
	v_fma_f16 v16, v18, s9, v16
	v_fma_f16 v47, v53, s0, v47
	v_add_f16_e32 v86, v86, v88
	v_fma_f16 v16, v53, s14, v16
	v_fma_f16 v47, v86, s8, v47
	;; [unrolled: 1-line block ×3, first 2 shown]
	v_add_f16_e32 v86, v54, v62
	v_lshrrev_b32_e32 v55, 16, v9
	v_fma_f16 v10, v10, s8, v15
	v_add_f16_e32 v15, v9, v54
	v_fma_f16 v9, v86, -0.5, v9
	v_add_f16_e32 v15, v15, v60
	v_fma_f16 v86, v53, s9, v9
	v_fma_f16 v9, v53, s1, v9
	v_add_f16_e32 v53, v56, v59
	v_add_f16_e32 v15, v15, v61
	v_sub_f16_e32 v88, v60, v54
	v_sub_f16_e32 v89, v61, v62
	v_fma_f16 v53, v53, -0.5, v55
	v_sub_f16_e32 v54, v54, v62
	v_add_f16_e32 v15, v15, v62
	v_fma_f16 v86, v18, s0, v86
	v_add_f16_e32 v88, v88, v89
	v_fma_f16 v9, v18, s14, v9
	v_fma_f16 v62, v54, s9, v53
	v_sub_f16_e32 v60, v60, v61
	v_fma_f16 v86, v88, s8, v86
	v_fma_f16 v9, v88, s8, v9
	;; [unrolled: 1-line block ×3, first 2 shown]
	v_sub_f16_e32 v62, v11, v56
	v_sub_f16_e32 v88, v17, v59
	v_fma_f16 v53, v54, s1, v53
	v_add_f16_e32 v62, v62, v88
	v_fma_f16 v53, v60, s0, v53
	v_add_f16_e32 v18, v55, v11
	v_fma_f16 v61, v62, s8, v61
	v_fma_f16 v53, v62, s8, v53
	v_add_f16_e32 v62, v11, v17
	v_add_f16_e32 v18, v18, v56
	v_fma_f16 v55, v62, -0.5, v55
	v_add_f16_e32 v18, v18, v59
	v_fma_f16 v62, v60, s1, v55
	v_fma_f16 v55, v60, s9, v55
	v_add_f16_e32 v18, v18, v17
	v_fma_f16 v62, v54, s14, v62
	v_sub_f16_e32 v11, v56, v11
	v_sub_f16_e32 v17, v59, v17
	v_fma_f16 v54, v54, s0, v55
	v_add_f16_e32 v55, v65, v66
	v_add_f16_e32 v11, v11, v17
	v_fma_f16 v55, v55, -0.5, v2
	v_sub_f16_e32 v56, v48, v57
	v_fma_f16 v17, v11, s8, v62
	v_fma_f16 v59, v56, s1, v55
	v_sub_f16_e32 v60, v13, v50
	v_sub_f16_e32 v62, v63, v65
	v_sub_f16_e32 v88, v67, v66
	v_fma_f16 v55, v56, s9, v55
	v_fma_f16 v59, v60, s0, v59
	v_add_f16_e32 v62, v62, v88
	v_fma_f16 v55, v60, s14, v55
	v_fma_f16 v59, v62, s8, v59
	;; [unrolled: 1-line block ×3, first 2 shown]
	v_add_f16_e32 v62, v63, v67
	v_lshrrev_b32_e32 v64, 16, v2
	v_fma_f16 v11, v11, s8, v54
	v_add_f16_e32 v54, v2, v63
	v_fma_f16 v2, v62, -0.5, v2
	v_add_f16_e32 v54, v54, v65
	v_fma_f16 v62, v60, s9, v2
	v_fma_f16 v2, v60, s1, v2
	v_add_f16_e32 v60, v13, v50
	v_add_f16_e32 v54, v54, v66
	v_sub_f16_e32 v88, v65, v63
	v_sub_f16_e32 v89, v66, v67
	v_fma_f16 v60, v60, -0.5, v64
	v_sub_f16_e32 v63, v63, v67
	v_add_f16_e32 v54, v54, v67
	v_fma_f16 v62, v56, s0, v62
	v_add_f16_e32 v88, v88, v89
	v_fma_f16 v2, v56, s14, v2
	v_fma_f16 v67, v63, s9, v60
	v_sub_f16_e32 v65, v65, v66
	v_fma_f16 v62, v88, s8, v62
	v_fma_f16 v2, v88, s8, v2
	;; [unrolled: 1-line block ×3, first 2 shown]
	v_sub_f16_e32 v67, v48, v13
	v_sub_f16_e32 v88, v57, v50
	v_fma_f16 v60, v63, s1, v60
	v_add_f16_e32 v56, v64, v48
	v_add_f16_e32 v67, v67, v88
	v_fma_f16 v60, v65, s0, v60
	v_add_f16_e32 v56, v56, v13
	v_fma_f16 v66, v67, s8, v66
	v_fma_f16 v60, v67, s8, v60
	v_add_f16_e32 v67, v48, v57
	v_add_f16_e32 v56, v56, v50
	v_fma_f16 v64, v67, -0.5, v64
	v_add_f16_e32 v56, v56, v57
	v_fma_f16 v67, v65, s1, v64
	v_sub_f16_e32 v13, v13, v48
	v_sub_f16_e32 v48, v50, v57
	v_fma_f16 v50, v65, s9, v64
	v_add_f16_e32 v57, v49, v14
	v_fma_f16 v67, v63, s14, v67
	v_add_f16_e32 v13, v13, v48
	v_fma_f16 v50, v63, s0, v50
	v_fma_f16 v57, v57, -0.5, v3
	v_sub_f16_e32 v63, v4, v7
	v_fma_f16 v48, v13, s8, v67
	v_fma_f16 v64, v63, s1, v57
	v_sub_f16_e32 v65, v5, v6
	v_sub_f16_e32 v67, v68, v49
	;; [unrolled: 1-line block ×3, first 2 shown]
	v_fma_f16 v57, v63, s9, v57
	v_fma_f16 v64, v65, s0, v64
	v_add_f16_e32 v67, v67, v88
	v_fma_f16 v57, v65, s14, v57
	v_fma_f16 v13, v13, s8, v50
	v_add_f16_e32 v50, v3, v68
	;; [unrolled: 3-line block ×3, first 2 shown]
	v_lshrrev_b32_e32 v69, 16, v3
	v_add_f16_e32 v50, v50, v49
	v_fma_f16 v3, v67, -0.5, v3
	v_add_f16_e32 v50, v50, v14
	v_fma_f16 v67, v65, s9, v3
	v_fma_f16 v3, v65, s1, v3
	v_add_f16_e32 v65, v5, v6
	v_add_f16_e32 v50, v50, v51
	v_sub_f16_e32 v88, v49, v68
	v_sub_f16_e32 v89, v14, v51
	v_fma_f16 v65, v65, -0.5, v69
	v_sub_f16_e32 v51, v68, v51
	v_fma_f16 v67, v63, s0, v67
	v_add_f16_e32 v88, v88, v89
	v_fma_f16 v3, v63, s14, v3
	v_fma_f16 v68, v51, s9, v65
	v_sub_f16_e32 v14, v49, v14
	v_fma_f16 v67, v88, s8, v67
	v_fma_f16 v3, v88, s8, v3
	;; [unrolled: 1-line block ×3, first 2 shown]
	v_sub_f16_e32 v68, v4, v5
	v_sub_f16_e32 v88, v7, v6
	v_fma_f16 v65, v51, s1, v65
	v_add_f16_e32 v68, v68, v88
	v_fma_f16 v65, v14, s0, v65
	v_add_f16_e32 v63, v69, v4
	v_fma_f16 v49, v68, s8, v49
	v_fma_f16 v65, v68, s8, v65
	v_add_f16_e32 v68, v4, v7
	v_add_f16_e32 v63, v63, v5
	v_fma_f16 v68, v68, -0.5, v69
	v_add_f16_e32 v63, v63, v6
	v_fma_f16 v69, v14, s1, v68
	v_sub_f16_e32 v4, v5, v4
	v_sub_f16_e32 v5, v6, v7
	v_fma_f16 v6, v14, s9, v68
	v_fma_f16 v69, v51, s14, v69
	v_add_f16_e32 v4, v4, v5
	v_fma_f16 v6, v51, s0, v6
	v_add_f16_e32 v63, v63, v7
	v_fma_f16 v5, v4, s8, v69
	v_fma_f16 v4, v4, s8, v6
	v_pack_b32_f16 v6, v58, v83
	v_pack_b32_f16 v7, v84, v52
	s_barrier
	ds_write2st64_b32 v40, v6, v7 offset1:8
	v_pack_b32_f16 v6, v87, v12
	v_pack_b32_f16 v7, v8, v10
	ds_write2st64_b32 v40, v6, v7 offset0:16 offset1:24
	v_pack_b32_f16 v6, v82, v85
	v_pack_b32_f16 v7, v15, v18
	ds_write2st64_b32 v40, v6, v7 offset0:32 offset1:40
	v_pack_b32_f16 v6, v47, v61
	v_pack_b32_f16 v7, v86, v17
	ds_write2st64_b32 v40, v6, v7 offset0:48 offset1:56
	v_pack_b32_f16 v7, v16, v53
	v_pack_b32_f16 v6, v9, v11
	ds_write_b32 v46, v7
	v_pack_b32_f16 v7, v54, v56
	ds_write2st64_b32 v40, v6, v7 offset0:64 offset1:80
	v_pack_b32_f16 v6, v59, v66
	v_pack_b32_f16 v7, v62, v48
	;; [unrolled: 1-line block ×3, first 2 shown]
	ds_write2st64_b32 v40, v6, v7 offset0:88 offset1:96
	ds_write_b32 v99, v2
	v_pack_b32_f16 v2, v55, v60
	v_pack_b32_f16 v6, v50, v63
	ds_write2st64_b32 v40, v2, v6 offset0:112 offset1:120
	v_pack_b32_f16 v2, v64, v49
	v_pack_b32_f16 v5, v67, v5
	ds_write2st64_b32 v40, v2, v5 offset0:128 offset1:136
	v_pack_b32_f16 v2, v3, v4
	ds_write_b32 v40, v2 offset:36864
	v_pack_b32_f16 v2, v57, v65
	ds_write_b32 v41, v2
	s_waitcnt lgkmcnt(0)
	s_barrier
	ds_read2st64_b32 v[2:3], v40 offset1:8
	ds_read2st64_b32 v[6:7], v40 offset0:32 offset1:40
	ds_read2st64_b32 v[8:9], v40 offset0:64 offset1:80
	;; [unrolled: 1-line block ×7, first 2 shown]
	ds_read_b32 v60, v99
	ds_read_b32 v61, v40 offset:36864
	s_waitcnt lgkmcnt(8)
	v_lshrrev_b32_e32 v18, 16, v7
	v_mul_f16_sdwa v83, v20, v18 dst_sel:DWORD dst_unused:UNUSED_PAD src0_sel:WORD_1 src1_sel:DWORD
	s_waitcnt lgkmcnt(7)
	v_lshrrev_b32_e32 v47, 16, v9
	v_fma_f16 v83, v20, v7, v83
	v_mul_f16_sdwa v7, v20, v7 dst_sel:DWORD dst_unused:UNUSED_PAD src0_sel:WORD_1 src1_sel:DWORD
	v_fma_f16 v7, v20, v18, -v7
	v_mul_f16_sdwa v18, v21, v47 dst_sel:DWORD dst_unused:UNUSED_PAD src0_sel:WORD_1 src1_sel:DWORD
	s_waitcnt lgkmcnt(6)
	v_lshrrev_b32_e32 v50, 16, v11
	s_waitcnt lgkmcnt(5)
	v_lshrrev_b32_e32 v52, 16, v12
	v_fma_f16 v18, v21, v9, v18
	v_mul_f16_sdwa v9, v21, v9 dst_sel:DWORD dst_unused:UNUSED_PAD src0_sel:WORD_1 src1_sel:DWORD
	v_fma_f16 v9, v21, v47, -v9
	v_mul_f16_sdwa v20, v22, v50 dst_sel:DWORD dst_unused:UNUSED_PAD src0_sel:WORD_1 src1_sel:DWORD
	v_mul_f16_sdwa v21, v24, v52 dst_sel:DWORD dst_unused:UNUSED_PAD src0_sel:WORD_1 src1_sel:DWORD
	s_waitcnt lgkmcnt(4)
	v_lshrrev_b32_e32 v53, 16, v14
	s_waitcnt lgkmcnt(3)
	v_lshrrev_b32_e32 v54, 16, v16
	v_fma_f16 v20, v22, v11, v20
	v_mul_f16_sdwa v11, v22, v11 dst_sel:DWORD dst_unused:UNUSED_PAD src0_sel:WORD_1 src1_sel:DWORD
	v_fma_f16 v21, v24, v12, v21
	v_mul_f16_sdwa v12, v24, v12 dst_sel:DWORD dst_unused:UNUSED_PAD src0_sel:WORD_1 src1_sel:DWORD
	v_fma_f16 v11, v22, v50, -v11
	v_fma_f16 v12, v24, v52, -v12
	v_mul_f16_sdwa v22, v25, v53 dst_sel:DWORD dst_unused:UNUSED_PAD src0_sel:WORD_1 src1_sel:DWORD
	v_mul_f16_sdwa v24, v26, v54 dst_sel:DWORD dst_unused:UNUSED_PAD src0_sel:WORD_1 src1_sel:DWORD
	v_lshrrev_b32_e32 v56, 16, v13
	v_lshrrev_b32_e32 v57, 16, v15
	v_fma_f16 v22, v25, v14, v22
	v_mul_f16_sdwa v14, v25, v14 dst_sel:DWORD dst_unused:UNUSED_PAD src0_sel:WORD_1 src1_sel:DWORD
	v_fma_f16 v24, v26, v16, v24
	v_mul_f16_sdwa v16, v26, v16 dst_sel:DWORD dst_unused:UNUSED_PAD src0_sel:WORD_1 src1_sel:DWORD
	v_fma_f16 v14, v25, v53, -v14
	v_fma_f16 v16, v26, v54, -v16
	v_mul_f16_sdwa v25, v28, v56 dst_sel:DWORD dst_unused:UNUSED_PAD src0_sel:WORD_1 src1_sel:DWORD
	v_mul_f16_sdwa v26, v29, v57 dst_sel:DWORD dst_unused:UNUSED_PAD src0_sel:WORD_1 src1_sel:DWORD
	v_lshrrev_b32_e32 v58, 16, v17
	v_lshrrev_b32_e32 v62, 16, v8
	ds_read_b32 v63, v46
	ds_read_b32 v64, v41
	v_fma_f16 v25, v28, v13, v25
	v_mul_f16_sdwa v13, v28, v13 dst_sel:DWORD dst_unused:UNUSED_PAD src0_sel:WORD_1 src1_sel:DWORD
	v_fma_f16 v26, v29, v15, v26
	v_mul_f16_sdwa v15, v29, v15 dst_sel:DWORD dst_unused:UNUSED_PAD src0_sel:WORD_1 src1_sel:DWORD
	v_fma_f16 v13, v28, v56, -v13
	v_fma_f16 v15, v29, v57, -v15
	v_mul_f16_sdwa v28, v30, v58 dst_sel:DWORD dst_unused:UNUSED_PAD src0_sel:WORD_1 src1_sel:DWORD
	v_mul_f16_sdwa v29, v32, v62 dst_sel:DWORD dst_unused:UNUSED_PAD src0_sel:WORD_1 src1_sel:DWORD
	s_waitcnt lgkmcnt(3)
	v_lshrrev_b32_e32 v65, 16, v60
	v_fma_f16 v28, v30, v17, v28
	v_mul_f16_sdwa v17, v30, v17 dst_sel:DWORD dst_unused:UNUSED_PAD src0_sel:WORD_1 src1_sel:DWORD
	v_fma_f16 v29, v32, v8, v29
	v_mul_f16_sdwa v8, v32, v8 dst_sel:DWORD dst_unused:UNUSED_PAD src0_sel:WORD_1 src1_sel:DWORD
	s_waitcnt lgkmcnt(2)
	v_lshrrev_b32_e32 v66, 16, v61
	v_fma_f16 v17, v30, v58, -v17
	v_fma_f16 v8, v32, v62, -v8
	v_mul_f16_sdwa v30, v33, v65 dst_sel:DWORD dst_unused:UNUSED_PAD src0_sel:WORD_1 src1_sel:DWORD
	v_mul_f16_sdwa v32, v33, v60 dst_sel:DWORD dst_unused:UNUSED_PAD src0_sel:WORD_1 src1_sel:DWORD
	s_waitcnt lgkmcnt(1)
	v_lshrrev_b32_e32 v68, 16, v63
	v_fma_f16 v30, v33, v60, v30
	v_fma_f16 v32, v33, v65, -v32
	v_mul_f16_sdwa v33, v34, v66 dst_sel:DWORD dst_unused:UNUSED_PAD src0_sel:WORD_1 src1_sel:DWORD
	v_mul_f16_sdwa v47, v34, v61 dst_sel:DWORD dst_unused:UNUSED_PAD src0_sel:WORD_1 src1_sel:DWORD
	v_lshrrev_b32_e32 v69, 16, v10
	v_fma_f16 v33, v34, v61, v33
	v_fma_f16 v34, v34, v66, -v47
	v_mul_f16_sdwa v47, v36, v68 dst_sel:DWORD dst_unused:UNUSED_PAD src0_sel:WORD_1 src1_sel:DWORD
	v_mul_f16_sdwa v50, v36, v63 dst_sel:DWORD dst_unused:UNUSED_PAD src0_sel:WORD_1 src1_sel:DWORD
	v_fma_f16 v47, v36, v63, v47
	v_fma_f16 v36, v36, v68, -v50
	v_mul_f16_sdwa v50, v37, v69 dst_sel:DWORD dst_unused:UNUSED_PAD src0_sel:WORD_1 src1_sel:DWORD
	v_lshrrev_b32_e32 v5, 16, v2
	v_lshrrev_b32_e32 v51, 16, v3
	s_waitcnt lgkmcnt(0)
	v_lshrrev_b32_e32 v82, 16, v64
	v_fma_f16 v50, v37, v10, v50
	v_mul_f16_sdwa v10, v37, v10 dst_sel:DWORD dst_unused:UNUSED_PAD src0_sel:WORD_1 src1_sel:DWORD
	v_fma_f16 v10, v37, v69, -v10
	v_mul_f16_sdwa v37, v38, v82 dst_sel:DWORD dst_unused:UNUSED_PAD src0_sel:WORD_1 src1_sel:DWORD
	v_mul_f16_sdwa v52, v38, v64 dst_sel:DWORD dst_unused:UNUSED_PAD src0_sel:WORD_1 src1_sel:DWORD
	v_sub_f16_e32 v18, v2, v18
	v_sub_f16_e32 v9, v5, v9
	;; [unrolled: 1-line block ×8, first 2 shown]
	v_lshrrev_b32_e32 v55, 16, v48
	v_fma_f16 v37, v38, v64, v37
	v_fma_f16 v38, v38, v82, -v52
	v_fma_f16 v2, v2, 2.0, -v18
	v_fma_f16 v5, v5, 2.0, -v9
	;; [unrolled: 1-line block ×8, first 2 shown]
	v_sub_f16_e32 v52, v2, v52
	v_sub_f16_e32 v7, v5, v7
	;; [unrolled: 1-line block ×8, first 2 shown]
	v_lshrrev_b32_e32 v59, 16, v49
	v_fma_f16 v2, v2, 2.0, -v52
	v_fma_f16 v5, v5, 2.0, -v7
	;; [unrolled: 1-line block ×4, first 2 shown]
	v_add_f16_e32 v16, v22, v16
	v_sub_f16_e32 v24, v14, v24
	v_fma_f16 v25, v25, 2.0, -v28
	v_fma_f16 v13, v13, 2.0, -v17
	v_add_f16_e32 v17, v26, v17
	v_sub_f16_e32 v28, v15, v28
	v_fma_f16 v22, v22, 2.0, -v16
	v_fma_f16 v14, v14, 2.0, -v24
	;; [unrolled: 1-line block ×6, first 2 shown]
	v_sub_f16_e32 v30, v49, v30
	v_sub_f16_e32 v32, v59, v32
	;; [unrolled: 1-line block ×4, first 2 shown]
	v_pack_b32_f16 v2, v2, v5
	v_pack_b32_f16 v3, v3, v51
	v_add_f16_e32 v11, v18, v11
	v_sub_f16_e32 v20, v9, v20
	v_sub_f16_e32 v25, v48, v25
	;; [unrolled: 1-line block ×3, first 2 shown]
	v_fma_f16 v49, v49, 2.0, -v30
	v_fma_f16 v54, v59, 2.0, -v32
	;; [unrolled: 1-line block ×4, first 2 shown]
	ds_write2st64_b32 v40, v2, v3 offset1:8
	v_pack_b32_f16 v2, v22, v14
	v_pack_b32_f16 v14, v26, v15
	v_fma_f16 v18, v18, 2.0, -v11
	v_fma_f16 v9, v9, 2.0, -v20
	v_sub_f16_e32 v29, v49, v29
	v_sub_f16_e32 v8, v54, v8
	v_pack_b32_f16 v3, v21, v12
	ds_write2st64_b32 v40, v2, v14 offset0:48 offset1:56
	v_pack_b32_f16 v2, v25, v13
	v_lshrrev_b32_e32 v67, 16, v6
	v_fma_f16 v48, v48, 2.0, -v25
	v_fma_f16 v53, v53, 2.0, -v13
	;; [unrolled: 1-line block ×4, first 2 shown]
	v_add_f16_e32 v34, v30, v34
	v_sub_f16_e32 v33, v32, v33
	v_pack_b32_f16 v5, v18, v9
	v_pack_b32_f16 v9, v11, v20
	;; [unrolled: 1-line block ×3, first 2 shown]
	ds_write2st64_b32 v40, v3, v2 offset0:88 offset1:96
	v_pack_b32_f16 v2, v17, v28
	v_fma_f16 v30, v30, 2.0, -v34
	v_fma_f16 v32, v32, 2.0, -v33
	v_sub_f16_e32 v50, v6, v50
	v_sub_f16_e32 v10, v67, v10
	;; [unrolled: 1-line block ×4, first 2 shown]
	v_pack_b32_f16 v12, v48, v53
	ds_write2st64_b32 v40, v11, v2 offset0:128 offset1:136
	v_pack_b32_f16 v2, v49, v54
	v_fma_f16 v6, v6, 2.0, -v50
	v_fma_f16 v55, v67, 2.0, -v10
	;; [unrolled: 1-line block ×4, first 2 shown]
	v_pack_b32_f16 v7, v52, v7
	ds_write2st64_b32 v40, v12, v2 offset0:16 offset1:24
	v_pack_b32_f16 v2, v30, v32
	v_sub_f16_e32 v47, v6, v47
	v_sub_f16_e32 v36, v55, v36
	ds_write2st64_b32 v40, v2, v7 offset0:64 offset1:80
	v_pack_b32_f16 v2, v29, v8
	v_fma_f16 v6, v6, 2.0, -v47
	v_fma_f16 v55, v55, 2.0, -v36
	v_add_f16_e32 v38, v50, v38
	v_sub_f16_e32 v37, v10, v37
	ds_write_b32 v99, v2
	v_pack_b32_f16 v2, v34, v33
	v_fma_f16 v50, v50, 2.0, -v38
	v_fma_f16 v10, v10, 2.0, -v37
	ds_write_b32 v40, v2 offset:36864
	v_pack_b32_f16 v2, v6, v55
	ds_write2st64_b32 v40, v2, v5 offset0:32 offset1:40
	v_pack_b32_f16 v2, v50, v10
	ds_write_b32 v46, v2
	v_pack_b32_f16 v2, v47, v36
	ds_write2st64_b32 v40, v2, v9 offset0:112 offset1:120
	v_pack_b32_f16 v2, v38, v37
	ds_write_b32 v41, v2
	s_waitcnt lgkmcnt(0)
	s_barrier
	ds_read2st64_b32 v[2:3], v40 offset1:8
	v_mad_u64_u32 v[6:7], s[0:1], s6, v44, 0
	v_mov_b32_e32 v8, v7
	v_mad_u64_u32 v[8:9], s[0:1], s7, v44, v[8:9]
	s_waitcnt lgkmcnt(0)
	v_lshrrev_b32_e32 v10, 16, v2
	v_mul_f16_sdwa v7, v1, v10 dst_sel:DWORD dst_unused:UNUSED_PAD src0_sel:WORD_1 src1_sel:DWORD
	v_fma_f16 v7, v1, v2, v7
	v_cvt_f32_f16_e32 v11, v7
	s_mov_b32 s6, 0x9999999a
	v_mov_b32_e32 v7, v8
	s_mov_b32 s7, 0x3f199999
	v_cvt_f64_f32_e32 v[8:9], v11
	v_mul_f64 v[8:9], v[8:9], s[6:7]
	s_movk_i32 s15, 0x1ff
	v_and_or_b32 v8, v9, s15, v8
	v_cmp_ne_u32_e32 vcc, 0, v8
	v_lshrrev_b32_e32 v11, 8, v9
	s_movk_i32 s14, 0xffe
	v_cndmask_b32_e64 v8, 0, 1, vcc
	v_bfe_u32 v12, v9, 20, 11
	v_and_or_b32 v8, v11, s14, v8
	v_sub_u32_e32 v13, 0x3f1, v12
	v_or_b32_e32 v11, 0x1000, v8
	v_med3_i32 v13, v13, 0, 13
	v_lshrrev_b32_e32 v14, v13, v11
	v_lshlrev_b32_e32 v13, v13, v14
	v_cmp_ne_u32_e32 vcc, v13, v11
	v_add_u32_e32 v12, 0xfffffc10, v12
	v_lshl_or_b32 v13, v12, 12, v8
	v_cndmask_b32_e64 v11, 0, 1, vcc
	v_or_b32_e32 v11, v14, v11
	v_cmp_gt_i32_e32 vcc, 1, v12
	v_mul_f16_sdwa v2, v1, v2 dst_sel:DWORD dst_unused:UNUSED_PAD src0_sel:WORD_1 src1_sel:DWORD
	v_fma_f16 v1, v1, v10, -v2
	v_cndmask_b32_e32 v11, v13, v11, vcc
	v_and_b32_e32 v13, 7, v11
	v_cmp_lt_i32_e32 vcc, 5, v13
	v_cmp_eq_u32_e64 s[0:1], 3, v13
	v_lshrrev_b32_e32 v11, 2, v11
	s_or_b64 vcc, s[0:1], vcc
	v_addc_co_u32_e32 v11, vcc, 0, v11, vcc
	v_mov_b32_e32 v16, 0x7c00
	v_cmp_gt_i32_e32 vcc, 31, v12
	v_cvt_f32_f16_e32 v1, v1
	v_mov_b32_e32 v4, s10
	v_cndmask_b32_e32 v11, v16, v11, vcc
	v_cmp_ne_u32_e32 vcc, 0, v8
	s_movk_i32 s10, 0x40f
	v_mov_b32_e32 v5, s11
	v_cndmask_b32_e64 v8, 0, 1, vcc
	v_lshl_or_b32 v8, v8, 9, v16
	v_cmp_eq_u32_e32 vcc, s10, v12
	s_mov_b32 s11, 0x8000
	v_and_b32_sdwa v13, v9, s11 dst_sel:DWORD dst_unused:UNUSED_PAD src0_sel:WORD_1 src1_sel:DWORD
	v_cndmask_b32_e32 v12, v11, v8, vcc
	v_cvt_f64_f32_e32 v[8:9], v1
	v_mul_f64 v[8:9], v[8:9], s[6:7]
	v_and_or_b32 v1, v9, s15, v8
	v_cmp_ne_u32_e32 vcc, 0, v1
	v_lshrrev_b32_e32 v2, 8, v9
	v_bfe_u32 v8, v9, 20, 11
	v_cndmask_b32_e64 v1, 0, 1, vcc
	v_and_or_b32 v1, v2, s14, v1
	v_sub_u32_e32 v10, 0x3f1, v8
	v_or_b32_e32 v2, 0x1000, v1
	v_med3_i32 v10, v10, 0, 13
	v_lshrrev_b32_e32 v11, v10, v2
	v_lshlrev_b32_e32 v10, v10, v11
	v_cmp_ne_u32_e32 vcc, v10, v2
	v_add_u32_e32 v8, 0xfffffc10, v8
	v_lshl_or_b32 v10, v8, 12, v1
	v_cndmask_b32_e64 v2, 0, 1, vcc
	v_or_b32_e32 v2, v11, v2
	v_cmp_gt_i32_e32 vcc, 1, v8
	s_mov_b32 s16, 0xffff
	v_lshl_add_u64 v[4:5], v[6:7], 2, v[4:5]
	v_cndmask_b32_e32 v2, v10, v2, vcc
	v_and_b32_e32 v10, 7, v2
	v_cmp_lt_i32_e32 vcc, 5, v10
	v_cmp_eq_u32_e64 s[0:1], 3, v10
	v_lshrrev_b32_e32 v2, 2, v2
	s_or_b64 vcc, s[0:1], vcc
	v_addc_co_u32_e32 v2, vcc, 0, v2, vcc
	v_cmp_gt_i32_e32 vcc, 31, v8
	s_nop 1
	v_cndmask_b32_e32 v2, v16, v2, vcc
	v_cmp_ne_u32_e32 vcc, 0, v1
	s_nop 1
	v_cndmask_b32_e64 v1, 0, 1, vcc
	v_lshl_or_b32 v1, v1, 9, v16
	v_cmp_eq_u32_e32 vcc, s10, v8
	s_nop 1
	v_cndmask_b32_e32 v1, v2, v1, vcc
	v_lshrrev_b32_e32 v2, 16, v9
	v_mad_u64_u32 v[8:9], s[0:1], s4, v0, 0
	v_and_or_b32 v14, v2, s11, v1
	v_mov_b32_e32 v2, v9
	v_mad_u64_u32 v[10:11], s[0:1], s5, v0, v[2:3]
	ds_read2st64_b32 v[0:1], v40 offset0:20 offset1:28
	v_mov_b32_e32 v9, v10
	v_bitop3_b32 v2, v13, s16, v12 bitop3:0xc8
	v_lshl_add_u64 v[6:7], v[8:9], 2, v[4:5]
	v_lshl_or_b32 v2, v14, 16, v2
	s_waitcnt lgkmcnt(0)
	v_lshrrev_b32_e32 v10, 16, v0
	v_mul_f16_sdwa v11, v80, v10 dst_sel:DWORD dst_unused:UNUSED_PAD src0_sel:WORD_1 src1_sel:DWORD
	v_fma_f16 v11, v80, v0, v11
	v_cvt_f32_f16_e32 v11, v11
	global_store_dword v[6:7], v2, off
	v_mul_f16_sdwa v0, v80, v0 dst_sel:DWORD dst_unused:UNUSED_PAD src0_sel:WORD_1 src1_sel:DWORD
	v_fma_f16 v0, v80, v10, -v0
	v_cvt_f64_f32_e32 v[4:5], v11
	v_mul_f64 v[4:5], v[4:5], s[6:7]
	v_and_or_b32 v2, v5, s15, v4
	v_cmp_ne_u32_e32 vcc, 0, v2
	v_lshrrev_b32_e32 v4, 8, v5
	v_bfe_u32 v8, v5, 20, 11
	v_cndmask_b32_e64 v2, 0, 1, vcc
	v_and_or_b32 v2, v4, s14, v2
	v_sub_u32_e32 v9, 0x3f1, v8
	v_or_b32_e32 v4, 0x1000, v2
	v_med3_i32 v9, v9, 0, 13
	v_lshrrev_b32_e32 v11, v9, v4
	v_lshlrev_b32_e32 v9, v9, v11
	v_cmp_ne_u32_e32 vcc, v9, v4
	v_add_u32_e32 v8, 0xfffffc10, v8
	v_lshl_or_b32 v9, v8, 12, v2
	v_cndmask_b32_e64 v4, 0, 1, vcc
	v_or_b32_e32 v4, v11, v4
	v_cmp_gt_i32_e32 vcc, 1, v8
	v_cvt_f32_f16_e32 v0, v0
	s_nop 0
	v_cndmask_b32_e32 v4, v9, v4, vcc
	v_and_b32_e32 v9, 7, v4
	v_cmp_lt_i32_e32 vcc, 5, v9
	v_cmp_eq_u32_e64 s[0:1], 3, v9
	v_lshrrev_b32_e32 v4, 2, v4
	s_or_b64 vcc, s[0:1], vcc
	v_addc_co_u32_e32 v4, vcc, 0, v4, vcc
	v_cmp_gt_i32_e32 vcc, 31, v8
	s_nop 1
	v_cndmask_b32_e32 v4, v16, v4, vcc
	v_cmp_ne_u32_e32 vcc, 0, v2
	s_nop 1
	v_cndmask_b32_e64 v2, 0, 1, vcc
	v_lshl_or_b32 v2, v2, 9, v16
	v_cmp_eq_u32_e32 vcc, s10, v8
	v_and_b32_sdwa v8, v5, s11 dst_sel:DWORD dst_unused:UNUSED_PAD src0_sel:WORD_1 src1_sel:DWORD
	s_nop 0
	v_cndmask_b32_e32 v2, v4, v2, vcc
	v_cvt_f64_f32_e32 v[4:5], v0
	v_mul_f64 v[4:5], v[4:5], s[6:7]
	v_and_or_b32 v0, v5, s15, v4
	v_cmp_ne_u32_e32 vcc, 0, v0
	v_lshrrev_b32_e32 v4, 8, v5
	v_bfe_u32 v9, v5, 20, 11
	v_cndmask_b32_e64 v0, 0, 1, vcc
	v_and_or_b32 v0, v4, s14, v0
	v_sub_u32_e32 v10, 0x3f1, v9
	v_or_b32_e32 v4, 0x1000, v0
	v_med3_i32 v10, v10, 0, 13
	v_lshrrev_b32_e32 v11, v10, v4
	v_lshlrev_b32_e32 v10, v10, v11
	v_cmp_ne_u32_e32 vcc, v10, v4
	v_add_u32_e32 v9, 0xfffffc10, v9
	v_lshl_or_b32 v10, v9, 12, v0
	v_cndmask_b32_e64 v4, 0, 1, vcc
	v_or_b32_e32 v4, v11, v4
	v_cmp_gt_i32_e32 vcc, 1, v9
	v_bitop3_b32 v2, v8, s16, v2 bitop3:0xc8
	s_nop 0
	v_cndmask_b32_e32 v4, v10, v4, vcc
	v_and_b32_e32 v10, 7, v4
	v_cmp_lt_i32_e32 vcc, 5, v10
	v_cmp_eq_u32_e64 s[0:1], 3, v10
	v_lshrrev_b32_e32 v4, 2, v4
	s_or_b64 vcc, s[0:1], vcc
	v_addc_co_u32_e32 v4, vcc, 0, v4, vcc
	v_cmp_gt_i32_e32 vcc, 31, v9
	s_mul_i32 s0, s5, 0x500
	s_mul_hi_u32 s1, s4, 0x500
	v_cndmask_b32_e32 v4, v16, v4, vcc
	v_cmp_ne_u32_e32 vcc, 0, v0
	s_add_i32 s1, s1, s0
	s_mul_i32 s0, s4, 0x500
	v_cndmask_b32_e64 v0, 0, 1, vcc
	v_lshl_or_b32 v0, v0, 9, v16
	v_cmp_eq_u32_e32 vcc, s10, v9
	s_lshl_b64 s[8:9], s[0:1], 2
	s_nop 0
	v_cndmask_b32_e32 v0, v4, v0, vcc
	v_lshrrev_b32_e32 v4, 16, v5
	v_and_or_b32 v0, v4, s11, v0
	ds_read2st64_b32 v[4:5], v40 offset0:40 offset1:48
	v_lshl_or_b32 v0, v0, 16, v2
	s_waitcnt lgkmcnt(0)
	v_lshrrev_b32_e32 v2, 16, v4
	v_mul_f16_sdwa v8, v81, v2 dst_sel:DWORD dst_unused:UNUSED_PAD src0_sel:WORD_1 src1_sel:DWORD
	v_fma_f16 v8, v81, v4, v8
	v_cvt_f32_f16_e32 v10, v8
	v_lshl_add_u64 v[8:9], v[6:7], 0, s[8:9]
	global_store_dword v[8:9], v0, off
	v_mul_f16_sdwa v4, v81, v4 dst_sel:DWORD dst_unused:UNUSED_PAD src0_sel:WORD_1 src1_sel:DWORD
	v_cvt_f64_f32_e32 v[6:7], v10
	v_mul_f64 v[6:7], v[6:7], s[6:7]
	v_and_or_b32 v0, v7, s15, v6
	v_cmp_ne_u32_e32 vcc, 0, v0
	v_lshrrev_b32_e32 v6, 8, v7
	v_bfe_u32 v10, v7, 20, 11
	v_cndmask_b32_e64 v0, 0, 1, vcc
	v_and_or_b32 v0, v6, s14, v0
	v_sub_u32_e32 v11, 0x3f1, v10
	v_or_b32_e32 v6, 0x1000, v0
	v_med3_i32 v11, v11, 0, 13
	v_lshrrev_b32_e32 v12, v11, v6
	v_lshlrev_b32_e32 v11, v11, v12
	v_cmp_ne_u32_e32 vcc, v11, v6
	v_add_u32_e32 v10, 0xfffffc10, v10
	v_lshl_or_b32 v11, v10, 12, v0
	v_cndmask_b32_e64 v6, 0, 1, vcc
	v_or_b32_e32 v6, v12, v6
	v_cmp_gt_i32_e32 vcc, 1, v10
	v_fma_f16 v2, v81, v2, -v4
	v_cvt_f32_f16_e32 v2, v2
	v_cndmask_b32_e32 v6, v11, v6, vcc
	v_and_b32_e32 v11, 7, v6
	v_cmp_lt_i32_e32 vcc, 5, v11
	v_cmp_eq_u32_e64 s[0:1], 3, v11
	v_lshrrev_b32_e32 v6, 2, v6
	s_or_b64 vcc, s[0:1], vcc
	v_addc_co_u32_e32 v6, vcc, 0, v6, vcc
	v_cmp_gt_i32_e32 vcc, 31, v10
	v_and_b32_sdwa v4, v7, s11 dst_sel:DWORD dst_unused:UNUSED_PAD src0_sel:WORD_1 src1_sel:DWORD
	s_nop 0
	v_cndmask_b32_e32 v6, v16, v6, vcc
	v_cmp_ne_u32_e32 vcc, 0, v0
	s_nop 1
	v_cndmask_b32_e64 v0, 0, 1, vcc
	v_lshl_or_b32 v0, v0, 9, v16
	v_cmp_eq_u32_e32 vcc, s10, v10
	s_nop 1
	v_cndmask_b32_e32 v0, v6, v0, vcc
	v_cvt_f64_f32_e32 v[6:7], v2
	v_mul_f64 v[10:11], v[6:7], s[6:7]
	v_and_or_b32 v2, v11, s15, v10
	v_cmp_ne_u32_e32 vcc, 0, v2
	v_lshrrev_b32_e32 v6, 8, v11
	v_bfe_u32 v7, v11, 20, 11
	v_cndmask_b32_e64 v2, 0, 1, vcc
	v_and_or_b32 v2, v6, s14, v2
	v_sub_u32_e32 v10, 0x3f1, v7
	v_or_b32_e32 v6, 0x1000, v2
	v_med3_i32 v10, v10, 0, 13
	v_lshrrev_b32_e32 v12, v10, v6
	v_lshlrev_b32_e32 v10, v10, v12
	v_cmp_ne_u32_e32 vcc, v10, v6
	v_add_u32_e32 v10, 0xfffffc10, v7
	v_lshl_or_b32 v7, v10, 12, v2
	v_cndmask_b32_e64 v6, 0, 1, vcc
	v_or_b32_e32 v6, v12, v6
	v_cmp_gt_i32_e32 vcc, 1, v10
	v_bitop3_b32 v0, v4, s16, v0 bitop3:0xc8
	s_nop 0
	v_cndmask_b32_e32 v6, v7, v6, vcc
	v_and_b32_e32 v7, 7, v6
	v_cmp_lt_i32_e32 vcc, 5, v7
	v_cmp_eq_u32_e64 s[0:1], 3, v7
	v_lshrrev_b32_e32 v6, 2, v6
	s_or_b64 vcc, s[0:1], vcc
	v_addc_co_u32_e32 v6, vcc, 0, v6, vcc
	v_cmp_gt_i32_e32 vcc, 31, v10
	s_nop 1
	v_cndmask_b32_e32 v12, v16, v6, vcc
	ds_read2st64_b32 v[6:7], v40 offset0:60 offset1:68
	v_cmp_ne_u32_e32 vcc, 0, v2
	s_waitcnt lgkmcnt(0)
	v_lshrrev_b32_e32 v4, 16, v6
	v_cndmask_b32_e64 v2, 0, 1, vcc
	v_lshl_or_b32 v2, v2, 9, v16
	v_cmp_eq_u32_e32 vcc, s10, v10
	v_lshrrev_b32_e32 v10, 16, v11
	s_nop 0
	v_cndmask_b32_e32 v2, v12, v2, vcc
	v_and_or_b32 v2, v10, s11, v2
	v_mul_f16_sdwa v10, v79, v4 dst_sel:DWORD dst_unused:UNUSED_PAD src0_sel:WORD_1 src1_sel:DWORD
	v_fma_f16 v10, v79, v6, v10
	v_cvt_f32_f16_e32 v12, v10
	v_lshl_add_u64 v[10:11], v[8:9], 0, s[8:9]
	v_lshl_or_b32 v0, v2, 16, v0
	global_store_dword v[10:11], v0, off
	v_cvt_f64_f32_e32 v[8:9], v12
	v_mul_f64 v[8:9], v[8:9], s[6:7]
	v_and_or_b32 v0, v9, s15, v8
	v_cmp_ne_u32_e32 vcc, 0, v0
	v_lshrrev_b32_e32 v2, 8, v9
	v_bfe_u32 v8, v9, 20, 11
	v_cndmask_b32_e64 v0, 0, 1, vcc
	v_and_or_b32 v0, v2, s14, v0
	v_sub_u32_e32 v12, 0x3f1, v8
	v_or_b32_e32 v2, 0x1000, v0
	v_med3_i32 v12, v12, 0, 13
	v_lshrrev_b32_e32 v13, v12, v2
	v_lshlrev_b32_e32 v12, v12, v13
	v_cmp_ne_u32_e32 vcc, v12, v2
	v_add_u32_e32 v8, 0xfffffc10, v8
	v_lshl_or_b32 v12, v8, 12, v0
	v_cndmask_b32_e64 v2, 0, 1, vcc
	v_or_b32_e32 v2, v13, v2
	v_cmp_gt_i32_e32 vcc, 1, v8
	v_mul_f16_sdwa v6, v79, v6 dst_sel:DWORD dst_unused:UNUSED_PAD src0_sel:WORD_1 src1_sel:DWORD
	v_fma_f16 v4, v79, v4, -v6
	v_cndmask_b32_e32 v2, v12, v2, vcc
	v_and_b32_e32 v12, 7, v2
	v_cmp_lt_i32_e32 vcc, 5, v12
	v_cmp_eq_u32_e64 s[0:1], 3, v12
	v_lshrrev_b32_e32 v2, 2, v2
	s_or_b64 vcc, s[0:1], vcc
	v_addc_co_u32_e32 v2, vcc, 0, v2, vcc
	v_cmp_gt_i32_e32 vcc, 31, v8
	v_cvt_f32_f16_e32 v4, v4
	s_nop 0
	v_cndmask_b32_e32 v2, v16, v2, vcc
	v_cmp_ne_u32_e32 vcc, 0, v0
	s_nop 1
	v_cndmask_b32_e64 v0, 0, 1, vcc
	v_lshl_or_b32 v0, v0, 9, v16
	v_cmp_eq_u32_e32 vcc, s10, v8
	s_nop 1
	v_cndmask_b32_e32 v0, v2, v0, vcc
	v_and_b32_sdwa v2, v9, s11 dst_sel:DWORD dst_unused:UNUSED_PAD src0_sel:WORD_1 src1_sel:DWORD
	v_cvt_f64_f32_e32 v[8:9], v4
	v_mul_f64 v[12:13], v[8:9], s[6:7]
	v_and_or_b32 v4, v13, s15, v12
	v_cmp_ne_u32_e32 vcc, 0, v4
	v_lshrrev_b32_e32 v6, 8, v13
	v_bfe_u32 v8, v13, 20, 11
	v_cndmask_b32_e64 v4, 0, 1, vcc
	v_and_or_b32 v4, v6, s14, v4
	v_sub_u32_e32 v9, 0x3f1, v8
	v_or_b32_e32 v6, 0x1000, v4
	v_med3_i32 v9, v9, 0, 13
	v_lshrrev_b32_e32 v12, v9, v6
	v_lshlrev_b32_e32 v9, v9, v12
	v_cmp_ne_u32_e32 vcc, v9, v6
	v_bitop3_b32 v0, v2, s16, v0 bitop3:0xc8
	s_nop 0
	v_cndmask_b32_e64 v6, 0, 1, vcc
	v_or_b32_e32 v6, v12, v6
	v_add_u32_e32 v12, 0xfffffc10, v8
	v_lshl_or_b32 v8, v12, 12, v4
	v_cmp_gt_i32_e32 vcc, 1, v12
	s_nop 1
	v_cndmask_b32_e32 v6, v8, v6, vcc
	v_and_b32_e32 v8, 7, v6
	v_cmp_lt_i32_e32 vcc, 5, v8
	v_cmp_eq_u32_e64 s[0:1], 3, v8
	v_lshrrev_b32_e32 v6, 2, v6
	s_or_b64 vcc, s[0:1], vcc
	v_addc_co_u32_e32 v6, vcc, 0, v6, vcc
	ds_read2st64_b32 v[8:9], v40 offset0:80 offset1:88
	v_cmp_gt_i32_e32 vcc, 31, v12
	s_waitcnt lgkmcnt(0)
	v_lshrrev_b32_e32 v2, 16, v8
	v_cndmask_b32_e32 v6, v16, v6, vcc
	v_cmp_ne_u32_e32 vcc, 0, v4
	s_nop 1
	v_cndmask_b32_e64 v4, 0, 1, vcc
	v_lshl_or_b32 v4, v4, 9, v16
	v_cmp_eq_u32_e32 vcc, s10, v12
	s_nop 1
	v_cndmask_b32_e32 v4, v6, v4, vcc
	v_lshrrev_b32_e32 v6, 16, v13
	v_and_or_b32 v4, v6, s11, v4
	v_mul_f16_sdwa v6, v78, v2 dst_sel:DWORD dst_unused:UNUSED_PAD src0_sel:WORD_1 src1_sel:DWORD
	v_fma_f16 v6, v78, v8, v6
	v_cvt_f32_f16_e32 v6, v6
	v_lshl_add_u64 v[12:13], v[10:11], 0, s[8:9]
	v_lshl_or_b32 v0, v4, 16, v0
	global_store_dword v[12:13], v0, off
	v_cvt_f64_f32_e32 v[10:11], v6
	v_mul_f64 v[10:11], v[10:11], s[6:7]
	v_and_or_b32 v0, v11, s15, v10
	v_cmp_ne_u32_e32 vcc, 0, v0
	v_lshrrev_b32_e32 v4, 8, v11
	v_bfe_u32 v6, v11, 20, 11
	v_cndmask_b32_e64 v0, 0, 1, vcc
	v_and_or_b32 v0, v4, s14, v0
	v_sub_u32_e32 v10, 0x3f1, v6
	v_or_b32_e32 v4, 0x1000, v0
	v_med3_i32 v10, v10, 0, 13
	v_lshrrev_b32_e32 v14, v10, v4
	v_lshlrev_b32_e32 v10, v10, v14
	v_cmp_ne_u32_e32 vcc, v10, v4
	v_add_u32_e32 v6, 0xfffffc10, v6
	v_lshl_or_b32 v10, v6, 12, v0
	v_cndmask_b32_e64 v4, 0, 1, vcc
	v_or_b32_e32 v4, v14, v4
	v_cmp_gt_i32_e32 vcc, 1, v6
	v_mul_f16_sdwa v8, v78, v8 dst_sel:DWORD dst_unused:UNUSED_PAD src0_sel:WORD_1 src1_sel:DWORD
	v_fma_f16 v2, v78, v2, -v8
	v_cndmask_b32_e32 v4, v10, v4, vcc
	v_and_b32_e32 v10, 7, v4
	v_cmp_lt_i32_e32 vcc, 5, v10
	v_cmp_eq_u32_e64 s[0:1], 3, v10
	v_lshrrev_b32_e32 v4, 2, v4
	s_or_b64 vcc, s[0:1], vcc
	v_addc_co_u32_e32 v4, vcc, 0, v4, vcc
	v_cmp_gt_i32_e32 vcc, 31, v6
	v_cvt_f32_f16_e32 v2, v2
	s_nop 0
	v_cndmask_b32_e32 v4, v16, v4, vcc
	v_cmp_ne_u32_e32 vcc, 0, v0
	s_nop 1
	v_cndmask_b32_e64 v0, 0, 1, vcc
	v_lshl_or_b32 v0, v0, 9, v16
	v_cmp_eq_u32_e32 vcc, s10, v6
	s_nop 1
	v_cndmask_b32_e32 v0, v4, v0, vcc
	v_and_b32_sdwa v4, v11, s11 dst_sel:DWORD dst_unused:UNUSED_PAD src0_sel:WORD_1 src1_sel:DWORD
	v_cvt_f64_f32_e32 v[10:11], v2
	v_mul_f64 v[14:15], v[10:11], s[6:7]
	v_and_or_b32 v2, v15, s15, v14
	v_cmp_ne_u32_e32 vcc, 0, v2
	v_lshrrev_b32_e32 v6, 8, v15
	v_bfe_u32 v8, v15, 20, 11
	v_cndmask_b32_e64 v2, 0, 1, vcc
	v_and_or_b32 v2, v6, s14, v2
	v_sub_u32_e32 v10, 0x3f1, v8
	v_or_b32_e32 v6, 0x1000, v2
	v_med3_i32 v10, v10, 0, 13
	v_lshrrev_b32_e32 v11, v10, v6
	v_lshlrev_b32_e32 v10, v10, v11
	v_cmp_ne_u32_e32 vcc, v10, v6
	v_add_u32_e32 v8, 0xfffffc10, v8
	v_lshl_or_b32 v10, v8, 12, v2
	v_cndmask_b32_e64 v6, 0, 1, vcc
	v_or_b32_e32 v6, v11, v6
	v_cmp_gt_i32_e32 vcc, 1, v8
	v_bitop3_b32 v0, v4, s16, v0 bitop3:0xc8
	s_nop 0
	v_cndmask_b32_e32 v6, v10, v6, vcc
	v_and_b32_e32 v10, 7, v6
	v_cmp_lt_i32_e32 vcc, 5, v10
	v_cmp_eq_u32_e64 s[0:1], 3, v10
	v_lshrrev_b32_e32 v6, 2, v6
	s_or_b64 vcc, s[0:1], vcc
	v_addc_co_u32_e32 v6, vcc, 0, v6, vcc
	ds_read2st64_b32 v[10:11], v40 offset0:100 offset1:108
	v_cmp_gt_i32_e32 vcc, 31, v8
	s_waitcnt lgkmcnt(0)
	v_lshrrev_b32_e32 v4, 16, v10
	v_cndmask_b32_e32 v6, v16, v6, vcc
	v_cmp_ne_u32_e32 vcc, 0, v2
	s_nop 1
	v_cndmask_b32_e64 v2, 0, 1, vcc
	v_lshl_or_b32 v2, v2, 9, v16
	v_cmp_eq_u32_e32 vcc, s10, v8
	s_nop 1
	v_cndmask_b32_e32 v2, v6, v2, vcc
	v_lshrrev_b32_e32 v6, 16, v15
	v_and_or_b32 v2, v6, s11, v2
	v_mul_f16_sdwa v6, v77, v4 dst_sel:DWORD dst_unused:UNUSED_PAD src0_sel:WORD_1 src1_sel:DWORD
	v_fma_f16 v6, v77, v10, v6
	v_cvt_f32_f16_e32 v6, v6
	v_lshl_add_u64 v[14:15], v[12:13], 0, s[8:9]
	v_lshl_or_b32 v0, v2, 16, v0
	global_store_dword v[14:15], v0, off
	v_cvt_f64_f32_e32 v[12:13], v6
	v_mul_f64 v[12:13], v[12:13], s[6:7]
	v_and_or_b32 v0, v13, s15, v12
	v_cmp_ne_u32_e32 vcc, 0, v0
	v_lshrrev_b32_e32 v2, 8, v13
	v_bfe_u32 v6, v13, 20, 11
	v_cndmask_b32_e64 v0, 0, 1, vcc
	v_and_or_b32 v0, v2, s14, v0
	v_sub_u32_e32 v8, 0x3f1, v6
	v_or_b32_e32 v2, 0x1000, v0
	v_med3_i32 v8, v8, 0, 13
	v_lshrrev_b32_e32 v12, v8, v2
	v_lshlrev_b32_e32 v8, v8, v12
	v_cmp_ne_u32_e32 vcc, v8, v2
	v_add_u32_e32 v6, 0xfffffc10, v6
	v_lshl_or_b32 v8, v6, 12, v0
	v_cndmask_b32_e64 v2, 0, 1, vcc
	v_or_b32_e32 v2, v12, v2
	v_cmp_gt_i32_e32 vcc, 1, v6
	s_nop 1
	v_cndmask_b32_e32 v2, v8, v2, vcc
	v_and_b32_e32 v8, 7, v2
	v_cmp_lt_i32_e32 vcc, 5, v8
	v_cmp_eq_u32_e64 s[0:1], 3, v8
	v_lshrrev_b32_e32 v2, 2, v2
	s_or_b64 vcc, s[0:1], vcc
	v_mul_f16_sdwa v8, v77, v10 dst_sel:DWORD dst_unused:UNUSED_PAD src0_sel:WORD_1 src1_sel:DWORD
	v_addc_co_u32_e32 v2, vcc, 0, v2, vcc
	v_fma_f16 v4, v77, v4, -v8
	v_cmp_gt_i32_e32 vcc, 31, v6
	v_cvt_f32_f16_e32 v4, v4
	s_nop 0
	v_cndmask_b32_e32 v2, v16, v2, vcc
	v_cmp_ne_u32_e32 vcc, 0, v0
	s_nop 1
	v_cndmask_b32_e64 v0, 0, 1, vcc
	v_lshl_or_b32 v0, v0, 9, v16
	v_cmp_eq_u32_e32 vcc, s10, v6
	s_nop 1
	v_cndmask_b32_e32 v0, v2, v0, vcc
	v_and_b32_sdwa v2, v13, s11 dst_sel:DWORD dst_unused:UNUSED_PAD src0_sel:WORD_1 src1_sel:DWORD
	v_cvt_f64_f32_e32 v[12:13], v4
	v_mul_f64 v[20:21], v[12:13], s[6:7]
	v_and_or_b32 v4, v21, s15, v20
	v_cmp_ne_u32_e32 vcc, 0, v4
	v_lshrrev_b32_e32 v6, 8, v21
	v_bfe_u32 v8, v21, 20, 11
	v_cndmask_b32_e64 v4, 0, 1, vcc
	v_and_or_b32 v4, v6, s14, v4
	v_sub_u32_e32 v10, 0x3f1, v8
	v_or_b32_e32 v6, 0x1000, v4
	v_med3_i32 v10, v10, 0, 13
	v_lshrrev_b32_e32 v12, v10, v6
	v_lshlrev_b32_e32 v10, v10, v12
	v_cmp_ne_u32_e32 vcc, v10, v6
	v_add_u32_e32 v8, 0xfffffc10, v8
	v_lshl_or_b32 v10, v8, 12, v4
	v_cndmask_b32_e64 v6, 0, 1, vcc
	v_or_b32_e32 v6, v12, v6
	v_cmp_gt_i32_e32 vcc, 1, v8
	ds_read2st64_b32 v[12:13], v40 offset0:120 offset1:128
	v_bitop3_b32 v0, v2, s16, v0 bitop3:0xc8
	v_cndmask_b32_e32 v6, v10, v6, vcc
	v_and_b32_e32 v10, 7, v6
	v_cmp_lt_i32_e32 vcc, 5, v10
	v_cmp_eq_u32_e64 s[0:1], 3, v10
	v_lshrrev_b32_e32 v6, 2, v6
	s_or_b64 vcc, s[0:1], vcc
	v_addc_co_u32_e32 v6, vcc, 0, v6, vcc
	v_cmp_gt_i32_e32 vcc, 31, v8
	s_waitcnt lgkmcnt(0)
	v_lshrrev_b32_e32 v2, 16, v12
	v_cndmask_b32_e32 v6, v16, v6, vcc
	v_cmp_ne_u32_e32 vcc, 0, v4
	s_nop 1
	v_cndmask_b32_e64 v4, 0, 1, vcc
	v_lshl_or_b32 v4, v4, 9, v16
	v_cmp_eq_u32_e32 vcc, s10, v8
	s_nop 1
	v_cndmask_b32_e32 v4, v6, v4, vcc
	v_lshrrev_b32_e32 v6, 16, v21
	v_and_or_b32 v4, v6, s11, v4
	v_mul_f16_sdwa v6, v76, v2 dst_sel:DWORD dst_unused:UNUSED_PAD src0_sel:WORD_1 src1_sel:DWORD
	v_fma_f16 v6, v76, v12, v6
	v_cvt_f32_f16_e32 v6, v6
	v_lshl_add_u64 v[20:21], v[14:15], 0, s[8:9]
	v_lshl_or_b32 v0, v4, 16, v0
	global_store_dword v[20:21], v0, off
	v_cvt_f64_f32_e32 v[14:15], v6
	v_mul_f64 v[14:15], v[14:15], s[6:7]
	v_and_or_b32 v0, v15, s15, v14
	v_cmp_ne_u32_e32 vcc, 0, v0
	v_lshrrev_b32_e32 v4, 8, v15
	v_bfe_u32 v6, v15, 20, 11
	v_cndmask_b32_e64 v0, 0, 1, vcc
	v_and_or_b32 v0, v4, s14, v0
	v_sub_u32_e32 v8, 0x3f1, v6
	v_or_b32_e32 v4, 0x1000, v0
	v_med3_i32 v8, v8, 0, 13
	v_lshrrev_b32_e32 v10, v8, v4
	v_lshlrev_b32_e32 v8, v8, v10
	v_cmp_ne_u32_e32 vcc, v8, v4
	v_add_u32_e32 v6, 0xfffffc10, v6
	v_lshl_or_b32 v8, v6, 12, v0
	v_cndmask_b32_e64 v4, 0, 1, vcc
	v_or_b32_e32 v4, v10, v4
	v_cmp_gt_i32_e32 vcc, 1, v6
	v_lshl_add_u64 v[20:21], v[20:21], 0, s[8:9]
	s_nop 0
	v_cndmask_b32_e32 v4, v8, v4, vcc
	v_and_b32_e32 v8, 7, v4
	v_cmp_lt_i32_e32 vcc, 5, v8
	v_cmp_eq_u32_e64 s[0:1], 3, v8
	v_lshrrev_b32_e32 v4, 2, v4
	s_or_b64 vcc, s[0:1], vcc
	v_mul_f16_sdwa v8, v76, v12 dst_sel:DWORD dst_unused:UNUSED_PAD src0_sel:WORD_1 src1_sel:DWORD
	v_addc_co_u32_e32 v4, vcc, 0, v4, vcc
	v_fma_f16 v2, v76, v2, -v8
	v_cmp_gt_i32_e32 vcc, 31, v6
	v_cvt_f32_f16_e32 v2, v2
	s_nop 0
	v_cndmask_b32_e32 v4, v16, v4, vcc
	v_cmp_ne_u32_e32 vcc, 0, v0
	s_nop 1
	v_cndmask_b32_e64 v0, 0, 1, vcc
	v_lshl_or_b32 v0, v0, 9, v16
	v_cmp_eq_u32_e32 vcc, s10, v6
	s_nop 1
	v_cndmask_b32_e32 v0, v4, v0, vcc
	v_and_b32_sdwa v4, v15, s11 dst_sel:DWORD dst_unused:UNUSED_PAD src0_sel:WORD_1 src1_sel:DWORD
	v_cvt_f64_f32_e32 v[14:15], v2
	v_mul_f64 v[24:25], v[14:15], s[6:7]
	v_and_or_b32 v2, v25, s15, v24
	v_cmp_ne_u32_e32 vcc, 0, v2
	v_lshrrev_b32_e32 v6, 8, v25
	v_bfe_u32 v8, v25, 20, 11
	v_cndmask_b32_e64 v2, 0, 1, vcc
	v_and_or_b32 v2, v6, s14, v2
	v_sub_u32_e32 v10, 0x3f1, v8
	v_or_b32_e32 v6, 0x1000, v2
	v_med3_i32 v10, v10, 0, 13
	v_lshrrev_b32_e32 v12, v10, v6
	v_lshlrev_b32_e32 v10, v10, v12
	v_cmp_ne_u32_e32 vcc, v10, v6
	v_add_u32_e32 v8, 0xfffffc10, v8
	v_lshl_or_b32 v10, v8, 12, v2
	v_cndmask_b32_e64 v6, 0, 1, vcc
	v_or_b32_e32 v6, v12, v6
	v_cmp_gt_i32_e32 vcc, 1, v8
	ds_read2st64_b32 v[14:15], v40 offset0:140 offset1:148
	v_bitop3_b32 v0, v4, s16, v0 bitop3:0xc8
	v_cndmask_b32_e32 v6, v10, v6, vcc
	v_and_b32_e32 v10, 7, v6
	v_cmp_lt_i32_e32 vcc, 5, v10
	v_cmp_eq_u32_e64 s[0:1], 3, v10
	v_lshrrev_b32_e32 v6, 2, v6
	s_or_b64 vcc, s[0:1], vcc
	v_addc_co_u32_e32 v6, vcc, 0, v6, vcc
	v_cmp_gt_i32_e32 vcc, 31, v8
	s_waitcnt lgkmcnt(0)
	v_lshrrev_b32_e32 v4, 16, v14
	v_cndmask_b32_e32 v6, v16, v6, vcc
	v_cmp_ne_u32_e32 vcc, 0, v2
	s_nop 1
	v_cndmask_b32_e64 v2, 0, 1, vcc
	v_lshl_or_b32 v2, v2, 9, v16
	v_cmp_eq_u32_e32 vcc, s10, v8
	s_nop 1
	v_cndmask_b32_e32 v2, v6, v2, vcc
	v_lshrrev_b32_e32 v6, 16, v25
	v_and_or_b32 v2, v6, s11, v2
	v_mul_f16_sdwa v6, v75, v4 dst_sel:DWORD dst_unused:UNUSED_PAD src0_sel:WORD_1 src1_sel:DWORD
	v_fma_f16 v6, v75, v14, v6
	v_cvt_f32_f16_e32 v6, v6
	v_lshl_or_b32 v0, v2, 16, v0
	global_store_dword v[20:21], v0, off
	v_lshl_add_u64 v[20:21], v[20:21], 0, s[8:9]
	v_cvt_f64_f32_e32 v[24:25], v6
	v_mul_f64 v[24:25], v[24:25], s[6:7]
	v_and_or_b32 v0, v25, s15, v24
	v_cmp_ne_u32_e32 vcc, 0, v0
	v_lshrrev_b32_e32 v2, 8, v25
	v_bfe_u32 v6, v25, 20, 11
	v_cndmask_b32_e64 v0, 0, 1, vcc
	v_and_or_b32 v0, v2, s14, v0
	v_sub_u32_e32 v8, 0x3f1, v6
	v_or_b32_e32 v2, 0x1000, v0
	v_med3_i32 v8, v8, 0, 13
	v_lshrrev_b32_e32 v10, v8, v2
	v_lshlrev_b32_e32 v8, v8, v10
	v_cmp_ne_u32_e32 vcc, v8, v2
	v_add_u32_e32 v6, 0xfffffc10, v6
	v_lshl_or_b32 v8, v6, 12, v0
	v_cndmask_b32_e64 v2, 0, 1, vcc
	v_or_b32_e32 v2, v10, v2
	v_cmp_gt_i32_e32 vcc, 1, v6
	s_nop 1
	v_cndmask_b32_e32 v2, v8, v2, vcc
	v_and_b32_e32 v8, 7, v2
	v_cmp_lt_i32_e32 vcc, 5, v8
	v_cmp_eq_u32_e64 s[0:1], 3, v8
	v_lshrrev_b32_e32 v2, 2, v2
	s_or_b64 vcc, s[0:1], vcc
	v_mul_f16_sdwa v8, v75, v14 dst_sel:DWORD dst_unused:UNUSED_PAD src0_sel:WORD_1 src1_sel:DWORD
	v_addc_co_u32_e32 v2, vcc, 0, v2, vcc
	v_fma_f16 v4, v75, v4, -v8
	v_cmp_gt_i32_e32 vcc, 31, v6
	v_cvt_f32_f16_e32 v4, v4
	s_nop 0
	v_cndmask_b32_e32 v2, v16, v2, vcc
	v_cmp_ne_u32_e32 vcc, 0, v0
	s_nop 1
	v_cndmask_b32_e64 v0, 0, 1, vcc
	v_lshl_or_b32 v0, v0, 9, v16
	v_cmp_eq_u32_e32 vcc, s10, v6
	s_nop 1
	v_cndmask_b32_e32 v0, v2, v0, vcc
	v_and_b32_sdwa v2, v25, s11 dst_sel:DWORD dst_unused:UNUSED_PAD src0_sel:WORD_1 src1_sel:DWORD
	v_cvt_f64_f32_e32 v[24:25], v4
	v_mul_f64 v[24:25], v[24:25], s[6:7]
	v_and_or_b32 v4, v25, s15, v24
	v_cmp_ne_u32_e32 vcc, 0, v4
	v_lshrrev_b32_e32 v6, 8, v25
	v_bfe_u32 v8, v25, 20, 11
	v_cndmask_b32_e64 v4, 0, 1, vcc
	v_and_or_b32 v4, v6, s14, v4
	v_sub_u32_e32 v10, 0x3f1, v8
	v_or_b32_e32 v6, 0x1000, v4
	v_med3_i32 v10, v10, 0, 13
	v_lshrrev_b32_e32 v12, v10, v6
	v_lshlrev_b32_e32 v10, v10, v12
	v_cmp_ne_u32_e32 vcc, v10, v6
	v_add_u32_e32 v8, 0xfffffc10, v8
	v_lshl_or_b32 v10, v8, 12, v4
	v_cndmask_b32_e64 v6, 0, 1, vcc
	v_or_b32_e32 v6, v12, v6
	v_cmp_gt_i32_e32 vcc, 1, v8
	v_bitop3_b32 v0, v2, s16, v0 bitop3:0xc8
	v_lshrrev_b32_e32 v2, 16, v3
	v_cndmask_b32_e32 v6, v10, v6, vcc
	v_and_b32_e32 v10, 7, v6
	v_cmp_lt_i32_e32 vcc, 5, v10
	v_cmp_eq_u32_e64 s[0:1], 3, v10
	v_lshrrev_b32_e32 v6, 2, v6
	s_or_b64 vcc, s[0:1], vcc
	v_addc_co_u32_e32 v6, vcc, 0, v6, vcc
	v_cmp_gt_i32_e32 vcc, 31, v8
	s_nop 1
	v_cndmask_b32_e32 v6, v16, v6, vcc
	v_cmp_ne_u32_e32 vcc, 0, v4
	s_nop 1
	v_cndmask_b32_e64 v4, 0, 1, vcc
	v_lshl_or_b32 v4, v4, 9, v16
	v_cmp_eq_u32_e32 vcc, s10, v8
	s_nop 1
	v_cndmask_b32_e32 v4, v6, v4, vcc
	v_lshrrev_b32_e32 v6, 16, v25
	v_and_or_b32 v4, v6, s11, v4
	v_mul_f16_sdwa v6, v74, v2 dst_sel:DWORD dst_unused:UNUSED_PAD src0_sel:WORD_1 src1_sel:DWORD
	v_fma_f16 v6, v74, v3, v6
	v_cvt_f32_f16_e32 v6, v6
	v_lshl_or_b32 v0, v4, 16, v0
	global_store_dword v[20:21], v0, off
	v_mul_f16_sdwa v3, v74, v3 dst_sel:DWORD dst_unused:UNUSED_PAD src0_sel:WORD_1 src1_sel:DWORD
	v_cvt_f64_f32_e32 v[24:25], v6
	v_mul_f64 v[24:25], v[24:25], s[6:7]
	v_and_or_b32 v0, v25, s15, v24
	v_cmp_ne_u32_e32 vcc, 0, v0
	v_lshrrev_b32_e32 v4, 8, v25
	v_bfe_u32 v6, v25, 20, 11
	v_cndmask_b32_e64 v0, 0, 1, vcc
	v_and_or_b32 v0, v4, s14, v0
	v_sub_u32_e32 v8, 0x3f1, v6
	v_or_b32_e32 v4, 0x1000, v0
	v_med3_i32 v8, v8, 0, 13
	v_lshrrev_b32_e32 v10, v8, v4
	v_lshlrev_b32_e32 v8, v8, v10
	v_cmp_ne_u32_e32 vcc, v8, v4
	v_add_u32_e32 v6, 0xfffffc10, v6
	v_lshl_or_b32 v8, v6, 12, v0
	v_cndmask_b32_e64 v4, 0, 1, vcc
	v_or_b32_e32 v4, v10, v4
	v_cmp_gt_i32_e32 vcc, 1, v6
	v_fma_f16 v2, v74, v2, -v3
	v_cvt_f32_f16_e32 v2, v2
	v_cndmask_b32_e32 v4, v8, v4, vcc
	v_and_b32_e32 v8, 7, v4
	v_cmp_lt_i32_e32 vcc, 5, v8
	v_cmp_eq_u32_e64 s[0:1], 3, v8
	v_lshrrev_b32_e32 v4, 2, v4
	s_or_b64 vcc, s[0:1], vcc
	v_addc_co_u32_e32 v4, vcc, 0, v4, vcc
	v_cmp_gt_i32_e32 vcc, 31, v6
	v_cvt_f64_f32_e32 v[2:3], v2
	v_mul_f64 v[2:3], v[2:3], s[6:7]
	v_cndmask_b32_e32 v4, v16, v4, vcc
	v_cmp_ne_u32_e32 vcc, 0, v0
	v_and_or_b32 v2, v3, s15, v2
	v_bfe_u32 v8, v3, 20, 11
	v_cndmask_b32_e64 v0, 0, 1, vcc
	v_lshl_or_b32 v0, v0, 9, v16
	v_cmp_eq_u32_e32 vcc, s10, v6
	v_lshrrev_b32_e32 v6, 8, v3
	v_sub_u32_e32 v10, 0x3f1, v8
	v_cndmask_b32_e32 v0, v4, v0, vcc
	v_cmp_ne_u32_e32 vcc, 0, v2
	v_med3_i32 v10, v10, 0, 13
	v_add_u32_e32 v8, 0xfffffc10, v8
	v_cndmask_b32_e64 v2, 0, 1, vcc
	v_and_or_b32 v2, v6, s14, v2
	v_or_b32_e32 v6, 0x1000, v2
	v_lshrrev_b32_e32 v12, v10, v6
	v_lshlrev_b32_e32 v10, v10, v12
	v_cmp_ne_u32_e32 vcc, v10, v6
	v_lshl_or_b32 v10, v8, 12, v2
	v_and_b32_sdwa v4, v25, s11 dst_sel:DWORD dst_unused:UNUSED_PAD src0_sel:WORD_1 src1_sel:DWORD
	v_cndmask_b32_e64 v6, 0, 1, vcc
	v_or_b32_e32 v6, v12, v6
	v_cmp_gt_i32_e32 vcc, 1, v8
	v_lshrrev_b32_e32 v3, 16, v3
	v_bitop3_b32 v0, v4, s16, v0 bitop3:0xc8
	v_cndmask_b32_e32 v6, v10, v6, vcc
	v_and_b32_e32 v10, 7, v6
	v_cmp_lt_i32_e32 vcc, 5, v10
	v_cmp_eq_u32_e64 s[0:1], 3, v10
	v_lshrrev_b32_e32 v6, 2, v6
	s_or_b64 vcc, s[0:1], vcc
	v_addc_co_u32_e32 v6, vcc, 0, v6, vcc
	v_cmp_gt_i32_e32 vcc, 31, v8
	v_lshrrev_b32_e32 v4, 16, v1
	s_mul_hi_u32 s1, s4, 0xffffdf00
	v_cndmask_b32_e32 v6, v16, v6, vcc
	v_cmp_ne_u32_e32 vcc, 0, v2
	s_mul_i32 s0, s5, 0xffffdf00
	s_sub_i32 s1, s1, s4
	v_cndmask_b32_e64 v2, 0, 1, vcc
	v_lshl_or_b32 v2, v2, 9, v16
	v_cmp_eq_u32_e32 vcc, s10, v8
	s_add_i32 s5, s1, s0
	s_mulk_i32 s4, 0xdf00
	v_cndmask_b32_e32 v2, v6, v2, vcc
	v_and_or_b32 v2, v3, s11, v2
	v_mul_f16_sdwa v3, v73, v4 dst_sel:DWORD dst_unused:UNUSED_PAD src0_sel:WORD_1 src1_sel:DWORD
	v_fma_f16 v3, v73, v1, v3
	v_cvt_f32_f16_e32 v6, v3
	v_lshl_or_b32 v0, v2, 16, v0
	v_lshl_add_u64 v[2:3], s[4:5], 2, v[20:21]
	global_store_dword v[2:3], v0, off
	v_cvt_f64_f32_e32 v[20:21], v6
	v_mul_f64 v[20:21], v[20:21], s[6:7]
	v_and_or_b32 v0, v21, s15, v20
	v_cmp_ne_u32_e32 vcc, 0, v0
	v_lshrrev_b32_e32 v6, 8, v21
	v_bfe_u32 v8, v21, 20, 11
	v_cndmask_b32_e64 v0, 0, 1, vcc
	v_and_or_b32 v0, v6, s14, v0
	v_sub_u32_e32 v10, 0x3f1, v8
	v_or_b32_e32 v6, 0x1000, v0
	v_med3_i32 v10, v10, 0, 13
	v_lshrrev_b32_e32 v12, v10, v6
	v_lshlrev_b32_e32 v10, v10, v12
	v_cmp_ne_u32_e32 vcc, v10, v6
	v_add_u32_e32 v8, 0xfffffc10, v8
	v_lshl_or_b32 v10, v8, 12, v0
	v_cndmask_b32_e64 v6, 0, 1, vcc
	v_or_b32_e32 v6, v12, v6
	v_cmp_gt_i32_e32 vcc, 1, v8
	v_mul_f16_sdwa v1, v73, v1 dst_sel:DWORD dst_unused:UNUSED_PAD src0_sel:WORD_1 src1_sel:DWORD
	v_fma_f16 v1, v73, v4, -v1
	v_cndmask_b32_e32 v6, v10, v6, vcc
	v_and_b32_e32 v10, 7, v6
	v_cmp_lt_i32_e32 vcc, 5, v10
	v_cmp_eq_u32_e64 s[0:1], 3, v10
	v_lshrrev_b32_e32 v6, 2, v6
	s_or_b64 vcc, s[0:1], vcc
	v_addc_co_u32_e32 v6, vcc, 0, v6, vcc
	v_cmp_gt_i32_e32 vcc, 31, v8
	v_cvt_f32_f16_e32 v1, v1
	s_nop 0
	v_cndmask_b32_e32 v6, v16, v6, vcc
	v_cmp_ne_u32_e32 vcc, 0, v0
	s_nop 1
	v_cndmask_b32_e64 v0, 0, 1, vcc
	v_lshl_or_b32 v0, v0, 9, v16
	v_cmp_eq_u32_e32 vcc, s10, v8
	s_nop 1
	v_cndmask_b32_e32 v4, v6, v0, vcc
	v_cvt_f64_f32_e32 v[0:1], v1
	v_mul_f64 v[0:1], v[0:1], s[6:7]
	v_and_or_b32 v0, v1, s15, v0
	v_cmp_ne_u32_e32 vcc, 0, v0
	v_lshrrev_b32_e32 v8, 8, v1
	v_bfe_u32 v10, v1, 20, 11
	v_cndmask_b32_e64 v0, 0, 1, vcc
	v_and_or_b32 v0, v8, s14, v0
	v_sub_u32_e32 v12, 0x3f1, v10
	v_or_b32_e32 v8, 0x1000, v0
	v_med3_i32 v12, v12, 0, 13
	v_lshrrev_b32_e32 v14, v12, v8
	v_lshlrev_b32_e32 v12, v12, v14
	v_cmp_ne_u32_e32 vcc, v12, v8
	v_add_u32_e32 v10, 0xfffffc10, v10
	v_lshl_or_b32 v12, v10, 12, v0
	v_cndmask_b32_e64 v8, 0, 1, vcc
	v_or_b32_e32 v8, v14, v8
	v_cmp_gt_i32_e32 vcc, 1, v10
	v_and_b32_sdwa v6, v21, s11 dst_sel:DWORD dst_unused:UNUSED_PAD src0_sel:WORD_1 src1_sel:DWORD
	v_lshrrev_b32_e32 v1, 16, v1
	v_cndmask_b32_e32 v8, v12, v8, vcc
	v_and_b32_e32 v12, 7, v8
	v_cmp_lt_i32_e32 vcc, 5, v12
	v_cmp_eq_u32_e64 s[0:1], 3, v12
	v_lshrrev_b32_e32 v8, 2, v8
	s_or_b64 vcc, s[0:1], vcc
	v_addc_co_u32_e32 v8, vcc, 0, v8, vcc
	v_cmp_gt_i32_e32 vcc, 31, v10
	s_nop 1
	v_cndmask_b32_e32 v8, v16, v8, vcc
	v_cmp_ne_u32_e32 vcc, 0, v0
	s_nop 1
	v_cndmask_b32_e64 v0, 0, 1, vcc
	v_lshl_or_b32 v0, v0, 9, v16
	v_cmp_eq_u32_e32 vcc, s10, v10
	s_nop 1
	v_cndmask_b32_e32 v0, v8, v0, vcc
	v_and_or_b32 v0, v1, s11, v0
	v_bitop3_b32 v1, v6, s16, v4 bitop3:0xc8
	v_lshrrev_b32_e32 v4, 16, v5
	v_mul_f16_sdwa v6, v72, v4 dst_sel:DWORD dst_unused:UNUSED_PAD src0_sel:WORD_1 src1_sel:DWORD
	v_fma_f16 v6, v72, v5, v6
	v_cvt_f32_f16_e32 v6, v6
	v_lshl_or_b32 v8, v0, 16, v1
	v_lshl_add_u64 v[0:1], v[2:3], 0, s[8:9]
	global_store_dword v[0:1], v8, off
	v_cvt_f64_f32_e32 v[2:3], v6
	v_mul_f64 v[2:3], v[2:3], s[6:7]
	v_and_or_b32 v2, v3, s15, v2
	v_cmp_ne_u32_e32 vcc, 0, v2
	v_lshrrev_b32_e32 v6, 8, v3
	v_bfe_u32 v8, v3, 20, 11
	v_cndmask_b32_e64 v2, 0, 1, vcc
	v_and_or_b32 v2, v6, s14, v2
	v_sub_u32_e32 v10, 0x3f1, v8
	v_or_b32_e32 v6, 0x1000, v2
	v_med3_i32 v10, v10, 0, 13
	v_lshrrev_b32_e32 v12, v10, v6
	v_lshlrev_b32_e32 v10, v10, v12
	v_cmp_ne_u32_e32 vcc, v10, v6
	v_add_u32_e32 v8, 0xfffffc10, v8
	v_lshl_or_b32 v10, v8, 12, v2
	v_cndmask_b32_e64 v6, 0, 1, vcc
	v_or_b32_e32 v6, v12, v6
	v_cmp_gt_i32_e32 vcc, 1, v8
	v_mul_f16_sdwa v5, v72, v5 dst_sel:DWORD dst_unused:UNUSED_PAD src0_sel:WORD_1 src1_sel:DWORD
	v_fma_f16 v4, v72, v4, -v5
	v_cndmask_b32_e32 v6, v10, v6, vcc
	v_and_b32_e32 v10, 7, v6
	v_cmp_lt_i32_e32 vcc, 5, v10
	v_cmp_eq_u32_e64 s[0:1], 3, v10
	v_lshrrev_b32_e32 v6, 2, v6
	s_or_b64 vcc, s[0:1], vcc
	v_addc_co_u32_e32 v6, vcc, 0, v6, vcc
	v_cmp_gt_i32_e32 vcc, 31, v8
	v_cvt_f32_f16_e32 v4, v4
	v_lshl_add_u64 v[0:1], v[0:1], 0, s[8:9]
	v_cndmask_b32_e32 v6, v16, v6, vcc
	v_cmp_ne_u32_e32 vcc, 0, v2
	s_nop 1
	v_cndmask_b32_e64 v2, 0, 1, vcc
	v_lshl_or_b32 v2, v2, 9, v16
	v_cmp_eq_u32_e32 vcc, s10, v8
	s_nop 1
	v_cndmask_b32_e32 v5, v6, v2, vcc
	v_and_b32_sdwa v6, v3, s11 dst_sel:DWORD dst_unused:UNUSED_PAD src0_sel:WORD_1 src1_sel:DWORD
	v_cvt_f64_f32_e32 v[2:3], v4
	v_mul_f64 v[2:3], v[2:3], s[6:7]
	v_and_or_b32 v2, v3, s15, v2
	v_cmp_ne_u32_e32 vcc, 0, v2
	v_lshrrev_b32_e32 v4, 8, v3
	v_bfe_u32 v8, v3, 20, 11
	v_cndmask_b32_e64 v2, 0, 1, vcc
	v_and_or_b32 v2, v4, s14, v2
	v_sub_u32_e32 v10, 0x3f1, v8
	v_or_b32_e32 v4, 0x1000, v2
	v_med3_i32 v10, v10, 0, 13
	v_lshrrev_b32_e32 v12, v10, v4
	v_lshlrev_b32_e32 v10, v10, v12
	v_cmp_ne_u32_e32 vcc, v10, v4
	v_add_u32_e32 v8, 0xfffffc10, v8
	v_lshl_or_b32 v10, v8, 12, v2
	v_cndmask_b32_e64 v4, 0, 1, vcc
	v_or_b32_e32 v4, v12, v4
	v_cmp_gt_i32_e32 vcc, 1, v8
	v_lshrrev_b32_e32 v3, 16, v3
	s_nop 0
	v_cndmask_b32_e32 v4, v10, v4, vcc
	v_and_b32_e32 v10, 7, v4
	v_cmp_lt_i32_e32 vcc, 5, v10
	v_cmp_eq_u32_e64 s[0:1], 3, v10
	v_lshrrev_b32_e32 v4, 2, v4
	s_or_b64 vcc, s[0:1], vcc
	v_addc_co_u32_e32 v4, vcc, 0, v4, vcc
	v_cmp_gt_i32_e32 vcc, 31, v8
	s_nop 1
	v_cndmask_b32_e32 v4, v16, v4, vcc
	v_cmp_ne_u32_e32 vcc, 0, v2
	s_nop 1
	v_cndmask_b32_e64 v2, 0, 1, vcc
	v_lshl_or_b32 v2, v2, 9, v16
	v_cmp_eq_u32_e32 vcc, s10, v8
	s_nop 1
	v_cndmask_b32_e32 v2, v4, v2, vcc
	v_lshrrev_b32_e32 v4, 16, v7
	v_and_or_b32 v2, v3, s11, v2
	v_bitop3_b32 v3, v6, s16, v5 bitop3:0xc8
	v_mul_f16_sdwa v5, v71, v4 dst_sel:DWORD dst_unused:UNUSED_PAD src0_sel:WORD_1 src1_sel:DWORD
	v_fma_f16 v5, v71, v7, v5
	v_cvt_f32_f16_e32 v5, v5
	v_lshl_or_b32 v2, v2, 16, v3
	global_store_dword v[0:1], v2, off
	v_mul_f16_sdwa v7, v71, v7 dst_sel:DWORD dst_unused:UNUSED_PAD src0_sel:WORD_1 src1_sel:DWORD
	v_cvt_f64_f32_e32 v[2:3], v5
	v_mul_f64 v[2:3], v[2:3], s[6:7]
	v_and_or_b32 v2, v3, s15, v2
	v_cmp_ne_u32_e32 vcc, 0, v2
	v_lshrrev_b32_e32 v5, 8, v3
	v_bfe_u32 v6, v3, 20, 11
	v_cndmask_b32_e64 v2, 0, 1, vcc
	v_and_or_b32 v2, v5, s14, v2
	v_sub_u32_e32 v8, 0x3f1, v6
	v_or_b32_e32 v5, 0x1000, v2
	v_med3_i32 v8, v8, 0, 13
	v_lshrrev_b32_e32 v10, v8, v5
	v_lshlrev_b32_e32 v8, v8, v10
	v_cmp_ne_u32_e32 vcc, v8, v5
	v_add_u32_e32 v6, 0xfffffc10, v6
	v_lshl_or_b32 v8, v6, 12, v2
	v_cndmask_b32_e64 v5, 0, 1, vcc
	v_or_b32_e32 v5, v10, v5
	v_cmp_gt_i32_e32 vcc, 1, v6
	v_fma_f16 v4, v71, v4, -v7
	v_cvt_f32_f16_e32 v4, v4
	v_cndmask_b32_e32 v5, v8, v5, vcc
	v_and_b32_e32 v8, 7, v5
	v_cmp_lt_i32_e32 vcc, 5, v8
	v_cmp_eq_u32_e64 s[0:1], 3, v8
	v_lshrrev_b32_e32 v5, 2, v5
	s_or_b64 vcc, s[0:1], vcc
	v_addc_co_u32_e32 v5, vcc, 0, v5, vcc
	v_cmp_gt_i32_e32 vcc, 31, v6
	v_lshl_add_u64 v[0:1], v[0:1], 0, s[8:9]
	s_nop 0
	v_cndmask_b32_e32 v5, v16, v5, vcc
	v_cmp_ne_u32_e32 vcc, 0, v2
	s_nop 1
	v_cndmask_b32_e64 v2, 0, 1, vcc
	v_lshl_or_b32 v2, v2, 9, v16
	v_cmp_eq_u32_e32 vcc, s10, v6
	v_and_b32_sdwa v6, v3, s11 dst_sel:DWORD dst_unused:UNUSED_PAD src0_sel:WORD_1 src1_sel:DWORD
	s_nop 0
	v_cndmask_b32_e32 v5, v5, v2, vcc
	v_cvt_f64_f32_e32 v[2:3], v4
	v_mul_f64 v[2:3], v[2:3], s[6:7]
	v_and_or_b32 v2, v3, s15, v2
	v_cmp_ne_u32_e32 vcc, 0, v2
	v_lshrrev_b32_e32 v4, 8, v3
	v_bfe_u32 v7, v3, 20, 11
	v_cndmask_b32_e64 v2, 0, 1, vcc
	v_and_or_b32 v2, v4, s14, v2
	v_sub_u32_e32 v8, 0x3f1, v7
	v_or_b32_e32 v4, 0x1000, v2
	v_med3_i32 v8, v8, 0, 13
	v_lshrrev_b32_e32 v10, v8, v4
	v_lshlrev_b32_e32 v8, v8, v10
	v_cmp_ne_u32_e32 vcc, v8, v4
	v_add_u32_e32 v7, 0xfffffc10, v7
	v_lshl_or_b32 v8, v7, 12, v2
	v_cndmask_b32_e64 v4, 0, 1, vcc
	v_or_b32_e32 v4, v10, v4
	v_cmp_gt_i32_e32 vcc, 1, v7
	v_lshrrev_b32_e32 v3, 16, v3
	s_nop 0
	v_cndmask_b32_e32 v4, v8, v4, vcc
	v_and_b32_e32 v8, 7, v4
	v_cmp_lt_i32_e32 vcc, 5, v8
	v_cmp_eq_u32_e64 s[0:1], 3, v8
	v_lshrrev_b32_e32 v4, 2, v4
	s_or_b64 vcc, s[0:1], vcc
	v_addc_co_u32_e32 v4, vcc, 0, v4, vcc
	v_cmp_gt_i32_e32 vcc, 31, v7
	s_nop 1
	v_cndmask_b32_e32 v4, v16, v4, vcc
	v_cmp_ne_u32_e32 vcc, 0, v2
	s_nop 1
	v_cndmask_b32_e64 v2, 0, 1, vcc
	v_lshl_or_b32 v2, v2, 9, v16
	v_cmp_eq_u32_e32 vcc, s10, v7
	s_nop 1
	v_cndmask_b32_e32 v2, v4, v2, vcc
	v_lshrrev_b32_e32 v4, 16, v9
	v_and_or_b32 v2, v3, s11, v2
	v_bitop3_b32 v3, v6, s16, v5 bitop3:0xc8
	v_mul_f16_sdwa v5, v70, v4 dst_sel:DWORD dst_unused:UNUSED_PAD src0_sel:WORD_1 src1_sel:DWORD
	v_fma_f16 v5, v70, v9, v5
	v_cvt_f32_f16_e32 v5, v5
	v_lshl_or_b32 v2, v2, 16, v3
	global_store_dword v[0:1], v2, off
	v_lshl_add_u64 v[0:1], v[0:1], 0, s[8:9]
	v_cvt_f64_f32_e32 v[2:3], v5
	v_mul_f64 v[2:3], v[2:3], s[6:7]
	v_and_or_b32 v2, v3, s15, v2
	v_cmp_ne_u32_e32 vcc, 0, v2
	v_lshrrev_b32_e32 v5, 8, v3
	v_bfe_u32 v6, v3, 20, 11
	v_cndmask_b32_e64 v2, 0, 1, vcc
	v_and_or_b32 v2, v5, s14, v2
	v_sub_u32_e32 v7, 0x3f1, v6
	v_or_b32_e32 v5, 0x1000, v2
	v_med3_i32 v7, v7, 0, 13
	v_lshrrev_b32_e32 v8, v7, v5
	v_lshlrev_b32_e32 v7, v7, v8
	v_cmp_ne_u32_e32 vcc, v7, v5
	v_add_u32_e32 v6, 0xfffffc10, v6
	v_lshl_or_b32 v7, v6, 12, v2
	v_cndmask_b32_e64 v5, 0, 1, vcc
	v_or_b32_e32 v5, v8, v5
	v_cmp_gt_i32_e32 vcc, 1, v6
	s_nop 1
	v_cndmask_b32_e32 v5, v7, v5, vcc
	v_and_b32_e32 v7, 7, v5
	v_cmp_lt_i32_e32 vcc, 5, v7
	v_cmp_eq_u32_e64 s[0:1], 3, v7
	v_lshrrev_b32_e32 v5, 2, v5
	s_or_b64 vcc, s[0:1], vcc
	v_mul_f16_sdwa v7, v70, v9 dst_sel:DWORD dst_unused:UNUSED_PAD src0_sel:WORD_1 src1_sel:DWORD
	v_addc_co_u32_e32 v5, vcc, 0, v5, vcc
	v_fma_f16 v4, v70, v4, -v7
	v_cmp_gt_i32_e32 vcc, 31, v6
	v_cvt_f32_f16_e32 v4, v4
	s_nop 0
	v_cndmask_b32_e32 v5, v16, v5, vcc
	v_cmp_ne_u32_e32 vcc, 0, v2
	s_nop 1
	v_cndmask_b32_e64 v2, 0, 1, vcc
	v_lshl_or_b32 v2, v2, 9, v16
	v_cmp_eq_u32_e32 vcc, s10, v6
	v_and_b32_sdwa v6, v3, s11 dst_sel:DWORD dst_unused:UNUSED_PAD src0_sel:WORD_1 src1_sel:DWORD
	s_nop 0
	v_cndmask_b32_e32 v5, v5, v2, vcc
	v_cvt_f64_f32_e32 v[2:3], v4
	v_mul_f64 v[2:3], v[2:3], s[6:7]
	v_and_or_b32 v2, v3, s15, v2
	v_cmp_ne_u32_e32 vcc, 0, v2
	v_lshrrev_b32_e32 v4, 8, v3
	v_bfe_u32 v7, v3, 20, 11
	v_cndmask_b32_e64 v2, 0, 1, vcc
	v_and_or_b32 v2, v4, s14, v2
	v_sub_u32_e32 v8, 0x3f1, v7
	v_or_b32_e32 v4, 0x1000, v2
	v_med3_i32 v8, v8, 0, 13
	v_lshrrev_b32_e32 v9, v8, v4
	v_lshlrev_b32_e32 v8, v8, v9
	v_cmp_ne_u32_e32 vcc, v8, v4
	v_add_u32_e32 v7, 0xfffffc10, v7
	v_lshl_or_b32 v8, v7, 12, v2
	v_cndmask_b32_e64 v4, 0, 1, vcc
	v_or_b32_e32 v4, v9, v4
	v_cmp_gt_i32_e32 vcc, 1, v7
	v_lshrrev_b32_e32 v3, 16, v3
	s_nop 0
	v_cndmask_b32_e32 v4, v8, v4, vcc
	v_and_b32_e32 v8, 7, v4
	v_cmp_lt_i32_e32 vcc, 5, v8
	v_cmp_eq_u32_e64 s[0:1], 3, v8
	v_lshrrev_b32_e32 v4, 2, v4
	s_or_b64 vcc, s[0:1], vcc
	v_addc_co_u32_e32 v4, vcc, 0, v4, vcc
	v_cmp_gt_i32_e32 vcc, 31, v7
	s_nop 1
	v_cndmask_b32_e32 v4, v16, v4, vcc
	v_cmp_ne_u32_e32 vcc, 0, v2
	s_nop 1
	v_cndmask_b32_e64 v2, 0, 1, vcc
	v_lshl_or_b32 v2, v2, 9, v16
	v_cmp_eq_u32_e32 vcc, s10, v7
	s_nop 1
	v_cndmask_b32_e32 v2, v4, v2, vcc
	v_lshrrev_b32_e32 v4, 16, v11
	v_and_or_b32 v2, v3, s11, v2
	v_bitop3_b32 v3, v6, s16, v5 bitop3:0xc8
	v_mul_f16_sdwa v5, v45, v4 dst_sel:DWORD dst_unused:UNUSED_PAD src0_sel:WORD_1 src1_sel:DWORD
	v_fma_f16 v5, v45, v11, v5
	v_cvt_f32_f16_e32 v5, v5
	v_lshl_or_b32 v2, v2, 16, v3
	global_store_dword v[0:1], v2, off
	v_lshl_add_u64 v[0:1], v[0:1], 0, s[8:9]
	v_cvt_f64_f32_e32 v[2:3], v5
	v_mul_f64 v[2:3], v[2:3], s[6:7]
	v_and_or_b32 v2, v3, s15, v2
	v_cmp_ne_u32_e32 vcc, 0, v2
	v_lshrrev_b32_e32 v5, 8, v3
	v_bfe_u32 v6, v3, 20, 11
	v_cndmask_b32_e64 v2, 0, 1, vcc
	v_and_or_b32 v2, v5, s14, v2
	v_sub_u32_e32 v7, 0x3f1, v6
	v_or_b32_e32 v5, 0x1000, v2
	v_med3_i32 v7, v7, 0, 13
	v_lshrrev_b32_e32 v8, v7, v5
	v_lshlrev_b32_e32 v7, v7, v8
	v_cmp_ne_u32_e32 vcc, v7, v5
	v_add_u32_e32 v6, 0xfffffc10, v6
	v_lshl_or_b32 v7, v6, 12, v2
	v_cndmask_b32_e64 v5, 0, 1, vcc
	v_or_b32_e32 v5, v8, v5
	v_cmp_gt_i32_e32 vcc, 1, v6
	s_nop 1
	v_cndmask_b32_e32 v5, v7, v5, vcc
	v_and_b32_e32 v7, 7, v5
	v_cmp_lt_i32_e32 vcc, 5, v7
	v_cmp_eq_u32_e64 s[0:1], 3, v7
	v_lshrrev_b32_e32 v5, 2, v5
	s_or_b64 vcc, s[0:1], vcc
	v_mul_f16_sdwa v7, v45, v11 dst_sel:DWORD dst_unused:UNUSED_PAD src0_sel:WORD_1 src1_sel:DWORD
	v_addc_co_u32_e32 v5, vcc, 0, v5, vcc
	v_fma_f16 v4, v45, v4, -v7
	v_cmp_gt_i32_e32 vcc, 31, v6
	v_cvt_f32_f16_e32 v4, v4
	s_nop 0
	v_cndmask_b32_e32 v5, v16, v5, vcc
	v_cmp_ne_u32_e32 vcc, 0, v2
	s_nop 1
	v_cndmask_b32_e64 v2, 0, 1, vcc
	v_lshl_or_b32 v2, v2, 9, v16
	v_cmp_eq_u32_e32 vcc, s10, v6
	v_and_b32_sdwa v6, v3, s11 dst_sel:DWORD dst_unused:UNUSED_PAD src0_sel:WORD_1 src1_sel:DWORD
	s_nop 0
	v_cndmask_b32_e32 v5, v5, v2, vcc
	v_cvt_f64_f32_e32 v[2:3], v4
	v_mul_f64 v[2:3], v[2:3], s[6:7]
	v_and_or_b32 v2, v3, s15, v2
	v_cmp_ne_u32_e32 vcc, 0, v2
	v_lshrrev_b32_e32 v4, 8, v3
	v_bfe_u32 v7, v3, 20, 11
	v_cndmask_b32_e64 v2, 0, 1, vcc
	v_and_or_b32 v2, v4, s14, v2
	v_sub_u32_e32 v8, 0x3f1, v7
	v_or_b32_e32 v4, 0x1000, v2
	v_med3_i32 v8, v8, 0, 13
	v_lshrrev_b32_e32 v9, v8, v4
	v_lshlrev_b32_e32 v8, v8, v9
	v_cmp_ne_u32_e32 vcc, v8, v4
	v_add_u32_e32 v7, 0xfffffc10, v7
	v_lshl_or_b32 v8, v7, 12, v2
	v_cndmask_b32_e64 v4, 0, 1, vcc
	v_or_b32_e32 v4, v9, v4
	v_cmp_gt_i32_e32 vcc, 1, v7
	v_lshrrev_b32_e32 v3, 16, v3
	s_nop 0
	v_cndmask_b32_e32 v4, v8, v4, vcc
	v_and_b32_e32 v8, 7, v4
	v_cmp_lt_i32_e32 vcc, 5, v8
	v_cmp_eq_u32_e64 s[0:1], 3, v8
	v_lshrrev_b32_e32 v4, 2, v4
	s_or_b64 vcc, s[0:1], vcc
	v_addc_co_u32_e32 v4, vcc, 0, v4, vcc
	v_cmp_gt_i32_e32 vcc, 31, v7
	s_nop 1
	v_cndmask_b32_e32 v4, v16, v4, vcc
	v_cmp_ne_u32_e32 vcc, 0, v2
	s_nop 1
	v_cndmask_b32_e64 v2, 0, 1, vcc
	v_lshl_or_b32 v2, v2, 9, v16
	v_cmp_eq_u32_e32 vcc, s10, v7
	s_nop 1
	v_cndmask_b32_e32 v2, v4, v2, vcc
	v_lshrrev_b32_e32 v4, 16, v13
	v_and_or_b32 v2, v3, s11, v2
	v_bitop3_b32 v3, v6, s16, v5 bitop3:0xc8
	v_mul_f16_sdwa v5, v35, v4 dst_sel:DWORD dst_unused:UNUSED_PAD src0_sel:WORD_1 src1_sel:DWORD
	v_fma_f16 v5, v35, v13, v5
	v_cvt_f32_f16_e32 v5, v5
	v_lshl_or_b32 v2, v2, 16, v3
	global_store_dword v[0:1], v2, off
	v_lshl_add_u64 v[0:1], v[0:1], 0, s[8:9]
	v_cvt_f64_f32_e32 v[2:3], v5
	v_mul_f64 v[2:3], v[2:3], s[6:7]
	v_and_or_b32 v2, v3, s15, v2
	v_cmp_ne_u32_e32 vcc, 0, v2
	v_lshrrev_b32_e32 v5, 8, v3
	v_bfe_u32 v6, v3, 20, 11
	v_cndmask_b32_e64 v2, 0, 1, vcc
	v_and_or_b32 v2, v5, s14, v2
	v_sub_u32_e32 v7, 0x3f1, v6
	v_or_b32_e32 v5, 0x1000, v2
	v_med3_i32 v7, v7, 0, 13
	v_lshrrev_b32_e32 v8, v7, v5
	v_lshlrev_b32_e32 v7, v7, v8
	v_cmp_ne_u32_e32 vcc, v7, v5
	v_add_u32_e32 v6, 0xfffffc10, v6
	v_lshl_or_b32 v7, v6, 12, v2
	v_cndmask_b32_e64 v5, 0, 1, vcc
	v_or_b32_e32 v5, v8, v5
	v_cmp_gt_i32_e32 vcc, 1, v6
	s_nop 1
	v_cndmask_b32_e32 v5, v7, v5, vcc
	v_and_b32_e32 v7, 7, v5
	v_cmp_lt_i32_e32 vcc, 5, v7
	v_cmp_eq_u32_e64 s[0:1], 3, v7
	v_lshrrev_b32_e32 v5, 2, v5
	s_or_b64 vcc, s[0:1], vcc
	v_mul_f16_sdwa v7, v35, v13 dst_sel:DWORD dst_unused:UNUSED_PAD src0_sel:WORD_1 src1_sel:DWORD
	v_addc_co_u32_e32 v5, vcc, 0, v5, vcc
	v_fma_f16 v4, v35, v4, -v7
	v_cmp_gt_i32_e32 vcc, 31, v6
	v_cvt_f32_f16_e32 v4, v4
	s_nop 0
	v_cndmask_b32_e32 v5, v16, v5, vcc
	v_cmp_ne_u32_e32 vcc, 0, v2
	s_nop 1
	v_cndmask_b32_e64 v2, 0, 1, vcc
	v_lshl_or_b32 v2, v2, 9, v16
	v_cmp_eq_u32_e32 vcc, s10, v6
	v_and_b32_sdwa v6, v3, s11 dst_sel:DWORD dst_unused:UNUSED_PAD src0_sel:WORD_1 src1_sel:DWORD
	s_nop 0
	v_cndmask_b32_e32 v5, v5, v2, vcc
	v_cvt_f64_f32_e32 v[2:3], v4
	v_mul_f64 v[2:3], v[2:3], s[6:7]
	v_and_or_b32 v2, v3, s15, v2
	v_cmp_ne_u32_e32 vcc, 0, v2
	v_lshrrev_b32_e32 v4, 8, v3
	v_bfe_u32 v7, v3, 20, 11
	v_cndmask_b32_e64 v2, 0, 1, vcc
	v_and_or_b32 v2, v4, s14, v2
	v_sub_u32_e32 v8, 0x3f1, v7
	v_or_b32_e32 v4, 0x1000, v2
	v_med3_i32 v8, v8, 0, 13
	v_lshrrev_b32_e32 v9, v8, v4
	v_lshlrev_b32_e32 v8, v8, v9
	v_cmp_ne_u32_e32 vcc, v8, v4
	v_add_u32_e32 v7, 0xfffffc10, v7
	v_lshl_or_b32 v8, v7, 12, v2
	v_cndmask_b32_e64 v4, 0, 1, vcc
	v_or_b32_e32 v4, v9, v4
	v_cmp_gt_i32_e32 vcc, 1, v7
	v_lshrrev_b32_e32 v3, 16, v3
	s_nop 0
	v_cndmask_b32_e32 v4, v8, v4, vcc
	v_and_b32_e32 v8, 7, v4
	v_cmp_lt_i32_e32 vcc, 5, v8
	v_cmp_eq_u32_e64 s[0:1], 3, v8
	v_lshrrev_b32_e32 v4, 2, v4
	s_or_b64 vcc, s[0:1], vcc
	v_addc_co_u32_e32 v4, vcc, 0, v4, vcc
	v_cmp_gt_i32_e32 vcc, 31, v7
	s_nop 1
	v_cndmask_b32_e32 v4, v16, v4, vcc
	v_cmp_ne_u32_e32 vcc, 0, v2
	s_nop 1
	v_cndmask_b32_e64 v2, 0, 1, vcc
	v_lshl_or_b32 v2, v2, 9, v16
	v_cmp_eq_u32_e32 vcc, s10, v7
	s_nop 1
	v_cndmask_b32_e32 v2, v4, v2, vcc
	v_lshrrev_b32_e32 v4, 16, v15
	v_and_or_b32 v2, v3, s11, v2
	v_bitop3_b32 v3, v6, s16, v5 bitop3:0xc8
	v_mul_f16_sdwa v5, v31, v4 dst_sel:DWORD dst_unused:UNUSED_PAD src0_sel:WORD_1 src1_sel:DWORD
	v_fma_f16 v5, v31, v15, v5
	v_cvt_f32_f16_e32 v5, v5
	v_lshl_or_b32 v2, v2, 16, v3
	global_store_dword v[0:1], v2, off
	v_lshl_add_u64 v[0:1], v[0:1], 0, s[8:9]
	v_cvt_f64_f32_e32 v[2:3], v5
	v_mul_f64 v[2:3], v[2:3], s[6:7]
	v_and_or_b32 v2, v3, s15, v2
	v_cmp_ne_u32_e32 vcc, 0, v2
	v_lshrrev_b32_e32 v5, 8, v3
	v_bfe_u32 v6, v3, 20, 11
	v_cndmask_b32_e64 v2, 0, 1, vcc
	v_and_or_b32 v2, v5, s14, v2
	v_sub_u32_e32 v7, 0x3f1, v6
	v_or_b32_e32 v5, 0x1000, v2
	v_med3_i32 v7, v7, 0, 13
	v_lshrrev_b32_e32 v8, v7, v5
	v_lshlrev_b32_e32 v7, v7, v8
	v_cmp_ne_u32_e32 vcc, v7, v5
	v_add_u32_e32 v6, 0xfffffc10, v6
	v_lshl_or_b32 v7, v6, 12, v2
	v_cndmask_b32_e64 v5, 0, 1, vcc
	v_or_b32_e32 v5, v8, v5
	v_cmp_gt_i32_e32 vcc, 1, v6
	s_nop 1
	v_cndmask_b32_e32 v5, v7, v5, vcc
	v_and_b32_e32 v7, 7, v5
	v_cmp_lt_i32_e32 vcc, 5, v7
	v_cmp_eq_u32_e64 s[0:1], 3, v7
	v_lshrrev_b32_e32 v5, 2, v5
	s_or_b64 vcc, s[0:1], vcc
	v_mul_f16_sdwa v7, v31, v15 dst_sel:DWORD dst_unused:UNUSED_PAD src0_sel:WORD_1 src1_sel:DWORD
	v_addc_co_u32_e32 v5, vcc, 0, v5, vcc
	v_fma_f16 v4, v31, v4, -v7
	v_cmp_gt_i32_e32 vcc, 31, v6
	v_cvt_f32_f16_e32 v4, v4
	s_nop 0
	v_cndmask_b32_e32 v5, v16, v5, vcc
	v_cmp_ne_u32_e32 vcc, 0, v2
	s_nop 1
	v_cndmask_b32_e64 v2, 0, 1, vcc
	v_lshl_or_b32 v2, v2, 9, v16
	v_cmp_eq_u32_e32 vcc, s10, v6
	v_and_b32_sdwa v6, v3, s11 dst_sel:DWORD dst_unused:UNUSED_PAD src0_sel:WORD_1 src1_sel:DWORD
	s_nop 0
	v_cndmask_b32_e32 v5, v5, v2, vcc
	v_cvt_f64_f32_e32 v[2:3], v4
	v_mul_f64 v[2:3], v[2:3], s[6:7]
	v_and_or_b32 v2, v3, s15, v2
	v_cmp_ne_u32_e32 vcc, 0, v2
	v_lshrrev_b32_e32 v4, 8, v3
	v_bfe_u32 v7, v3, 20, 11
	v_cndmask_b32_e64 v2, 0, 1, vcc
	v_and_or_b32 v2, v4, s14, v2
	v_sub_u32_e32 v8, 0x3f1, v7
	v_or_b32_e32 v4, 0x1000, v2
	v_med3_i32 v8, v8, 0, 13
	v_lshrrev_b32_e32 v9, v8, v4
	v_lshlrev_b32_e32 v8, v8, v9
	v_cmp_ne_u32_e32 vcc, v8, v4
	v_add_u32_e32 v7, 0xfffffc10, v7
	v_lshl_or_b32 v8, v7, 12, v2
	v_cndmask_b32_e64 v4, 0, 1, vcc
	v_or_b32_e32 v4, v9, v4
	v_cmp_gt_i32_e32 vcc, 1, v7
	v_lshrrev_b32_e32 v3, 16, v3
	s_nop 0
	v_cndmask_b32_e32 v4, v8, v4, vcc
	v_and_b32_e32 v8, 7, v4
	v_cmp_lt_i32_e32 vcc, 5, v8
	v_cmp_eq_u32_e64 s[0:1], 3, v8
	v_lshrrev_b32_e32 v4, 2, v4
	s_or_b64 vcc, s[0:1], vcc
	v_addc_co_u32_e32 v4, vcc, 0, v4, vcc
	v_cmp_gt_i32_e32 vcc, 31, v7
	s_nop 1
	v_cndmask_b32_e32 v4, v16, v4, vcc
	v_cmp_ne_u32_e32 vcc, 0, v2
	s_nop 1
	v_cndmask_b32_e64 v2, 0, 1, vcc
	v_lshl_or_b32 v2, v2, 9, v16
	v_cmp_eq_u32_e32 vcc, s10, v7
	s_nop 1
	v_cndmask_b32_e32 v2, v4, v2, vcc
	v_and_or_b32 v2, v3, s11, v2
	v_bitop3_b32 v3, v6, s16, v5 bitop3:0xc8
	v_lshl_or_b32 v2, v2, 16, v3
	global_store_dword v[0:1], v2, off
	s_and_b64 exec, exec, s[2:3]
	s_cbranch_execz .LBB0_15
; %bb.14:
	global_load_dword v4, v39, s[12:13]
	ds_read2st64_b32 v[2:3], v40 offset0:16 offset1:36
	s_movk_i32 s0, 0x2000
	v_lshl_add_u64 v[0:1], s[4:5], 2, v[0:1]
	s_waitcnt lgkmcnt(0)
	v_lshrrev_b32_e32 v5, 16, v2
	s_waitcnt vmcnt(0)
	v_mul_f16_sdwa v6, v5, v4 dst_sel:DWORD dst_unused:UNUSED_PAD src0_sel:DWORD src1_sel:WORD_1
	v_mul_f16_sdwa v7, v2, v4 dst_sel:DWORD dst_unused:UNUSED_PAD src0_sel:DWORD src1_sel:WORD_1
	v_fma_f16 v2, v2, v4, v6
	v_fma_f16 v4, v4, v5, -v7
	v_cvt_f32_f16_e32 v2, v2
	v_cvt_f32_f16_e32 v8, v4
	v_add_co_u32_e32 v4, vcc, s0, v42
	v_cvt_f64_f32_e32 v[6:7], v2
	v_cvt_f64_f32_e32 v[8:9], v8
	v_mul_f64 v[6:7], v[6:7], s[6:7]
	v_addc_co_u32_e32 v5, vcc, 0, v43, vcc
	v_mul_f64 v[8:9], v[8:9], s[6:7]
	v_and_or_b32 v2, v7, s15, v6
	v_and_or_b32 v8, v9, s15, v8
	v_cmp_ne_u32_e32 vcc, 0, v2
	v_lshrrev_b32_e32 v6, 8, v7
	v_bfe_u32 v10, v7, 20, 11
	v_cndmask_b32_e64 v2, 0, 1, vcc
	v_cmp_ne_u32_e32 vcc, 0, v8
	v_lshrrev_b32_e32 v11, 8, v9
	v_bfe_u32 v12, v9, 20, 11
	v_sub_u32_e32 v13, 0x3f1, v10
	v_cndmask_b32_e64 v8, 0, 1, vcc
	v_and_or_b32 v2, v6, s14, v2
	v_sub_u32_e32 v14, 0x3f1, v12
	v_med3_i32 v6, v13, 0, 13
	v_and_or_b32 v8, v11, s14, v8
	v_or_b32_e32 v13, 0x1000, v2
	v_add_u32_e32 v10, 0xfffffc10, v10
	v_med3_i32 v11, v14, 0, 13
	v_cmp_ne_u32_e32 vcc, 0, v2
	v_or_b32_e32 v15, 0x1000, v8
	v_lshrrev_b32_e32 v18, v6, v13
	v_add_u32_e32 v12, 0xfffffc10, v12
	v_lshl_or_b32 v14, v10, 12, v2
	v_cndmask_b32_e64 v2, 0, 1, vcc
	v_cmp_ne_u32_e32 vcc, 0, v8
	v_lshrrev_b32_e32 v20, v11, v15
	v_lshlrev_b32_e32 v6, v6, v18
	v_lshl_or_b32 v17, v12, 12, v8
	v_cndmask_b32_e64 v8, 0, 1, vcc
	v_lshlrev_b32_e32 v11, v11, v20
	v_cmp_ne_u32_e32 vcc, v6, v13
	v_lshl_or_b32 v2, v2, 9, v16
	v_lshl_or_b32 v8, v8, 9, v16
	v_cndmask_b32_e64 v6, 0, 1, vcc
	v_cmp_ne_u32_e32 vcc, v11, v15
	v_or_b32_e32 v6, v18, v6
	v_and_b32_sdwa v7, v7, s11 dst_sel:DWORD dst_unused:UNUSED_PAD src0_sel:WORD_1 src1_sel:DWORD
	v_cndmask_b32_e64 v11, 0, 1, vcc
	v_cmp_gt_i32_e32 vcc, 1, v10
	v_or_b32_e32 v11, v20, v11
	v_lshrrev_b32_e32 v9, 16, v9
	v_cndmask_b32_e32 v6, v14, v6, vcc
	v_cmp_gt_i32_e32 vcc, 1, v12
	v_and_b32_e32 v13, 7, v6
	v_cmp_eq_u32_e64 s[0:1], 3, v13
	v_cndmask_b32_e32 v11, v17, v11, vcc
	v_cmp_lt_i32_e32 vcc, 5, v13
	v_lshrrev_b32_e32 v6, 2, v6
	v_and_b32_e32 v14, 7, v11
	s_or_b64 vcc, s[0:1], vcc
	v_cmp_lt_i32_e64 s[2:3], 5, v14
	v_cmp_eq_u32_e64 s[4:5], 3, v14
	v_addc_co_u32_e32 v6, vcc, 0, v6, vcc
	v_lshrrev_b32_e32 v11, 2, v11
	s_or_b64 vcc, s[4:5], s[2:3]
	v_addc_co_u32_e32 v11, vcc, 0, v11, vcc
	v_cmp_gt_i32_e32 vcc, 31, v10
	s_nop 1
	v_cndmask_b32_e32 v6, v16, v6, vcc
	v_cmp_gt_i32_e32 vcc, 31, v12
	s_nop 1
	v_cndmask_b32_e32 v11, v16, v11, vcc
	v_cmp_eq_u32_e32 vcc, s10, v10
	s_nop 1
	v_cndmask_b32_e32 v2, v6, v2, vcc
	v_cmp_eq_u32_e32 vcc, s10, v12
	v_bitop3_b32 v2, v7, s16, v2 bitop3:0xc8
	s_nop 0
	v_cndmask_b32_e32 v6, v11, v8, vcc
	v_and_or_b32 v6, v9, s11, v6
	v_lshl_or_b32 v2, v6, 16, v2
	global_store_dword v[0:1], v2, off
	global_load_dword v2, v[4:5], off offset:1024
	v_lshrrev_b32_e32 v4, 16, v3
	v_lshl_add_u64 v[0:1], v[0:1], 0, s[8:9]
	s_waitcnt vmcnt(0)
	v_mul_f16_sdwa v5, v4, v2 dst_sel:DWORD dst_unused:UNUSED_PAD src0_sel:DWORD src1_sel:WORD_1
	v_mul_f16_sdwa v6, v3, v2 dst_sel:DWORD dst_unused:UNUSED_PAD src0_sel:DWORD src1_sel:WORD_1
	v_fma_f16 v3, v3, v2, v5
	v_fma_f16 v2, v2, v4, -v6
	v_cvt_f32_f16_e32 v3, v3
	v_cvt_f32_f16_e32 v4, v2
	v_cvt_f64_f32_e32 v[2:3], v3
	v_cvt_f64_f32_e32 v[4:5], v4
	v_mul_f64 v[2:3], v[2:3], s[6:7]
	v_mul_f64 v[4:5], v[4:5], s[6:7]
	v_and_or_b32 v2, v3, s15, v2
	v_and_or_b32 v4, v5, s15, v4
	v_cmp_ne_u32_e32 vcc, 0, v2
	v_lshrrev_b32_e32 v6, 8, v3
	v_bfe_u32 v7, v3, 20, 11
	v_cndmask_b32_e64 v2, 0, 1, vcc
	v_cmp_ne_u32_e32 vcc, 0, v4
	v_lshrrev_b32_e32 v8, 8, v5
	v_bfe_u32 v9, v5, 20, 11
	v_sub_u32_e32 v10, 0x3f1, v7
	v_cndmask_b32_e64 v4, 0, 1, vcc
	v_and_or_b32 v2, v6, s14, v2
	v_sub_u32_e32 v11, 0x3f1, v9
	v_med3_i32 v6, v10, 0, 13
	v_and_or_b32 v4, v8, s14, v4
	v_or_b32_e32 v10, 0x1000, v2
	v_add_u32_e32 v7, 0xfffffc10, v7
	v_med3_i32 v8, v11, 0, 13
	v_cmp_ne_u32_e32 vcc, 0, v2
	v_or_b32_e32 v12, 0x1000, v4
	v_lshrrev_b32_e32 v14, v6, v10
	v_add_u32_e32 v9, 0xfffffc10, v9
	v_lshl_or_b32 v11, v7, 12, v2
	v_cndmask_b32_e64 v2, 0, 1, vcc
	v_cmp_ne_u32_e32 vcc, 0, v4
	v_lshrrev_b32_e32 v15, v8, v12
	v_lshlrev_b32_e32 v6, v6, v14
	v_lshl_or_b32 v13, v9, 12, v4
	v_cndmask_b32_e64 v4, 0, 1, vcc
	v_lshlrev_b32_e32 v8, v8, v15
	v_cmp_ne_u32_e32 vcc, v6, v10
	v_lshl_or_b32 v2, v2, 9, v16
	v_lshl_or_b32 v4, v4, 9, v16
	v_cndmask_b32_e64 v6, 0, 1, vcc
	v_cmp_ne_u32_e32 vcc, v8, v12
	v_or_b32_e32 v6, v14, v6
	v_and_b32_sdwa v3, v3, s11 dst_sel:DWORD dst_unused:UNUSED_PAD src0_sel:WORD_1 src1_sel:DWORD
	v_cndmask_b32_e64 v8, 0, 1, vcc
	v_cmp_gt_i32_e32 vcc, 1, v7
	v_or_b32_e32 v8, v15, v8
	v_lshrrev_b32_e32 v5, 16, v5
	v_cndmask_b32_e32 v6, v11, v6, vcc
	v_cmp_gt_i32_e32 vcc, 1, v9
	v_and_b32_e32 v10, 7, v6
	v_cmp_eq_u32_e64 s[0:1], 3, v10
	v_cndmask_b32_e32 v8, v13, v8, vcc
	v_cmp_lt_i32_e32 vcc, 5, v10
	v_lshrrev_b32_e32 v6, 2, v6
	v_and_b32_e32 v11, 7, v8
	s_or_b64 vcc, s[0:1], vcc
	v_cmp_lt_i32_e64 s[2:3], 5, v11
	v_cmp_eq_u32_e64 s[4:5], 3, v11
	v_addc_co_u32_e32 v6, vcc, 0, v6, vcc
	v_lshrrev_b32_e32 v8, 2, v8
	s_or_b64 vcc, s[4:5], s[2:3]
	v_addc_co_u32_e32 v8, vcc, 0, v8, vcc
	v_cmp_gt_i32_e32 vcc, 31, v7
	s_movk_i32 s0, 0x4000
	s_nop 0
	v_cndmask_b32_e32 v6, v16, v6, vcc
	v_cmp_gt_i32_e32 vcc, 31, v9
	s_nop 1
	v_cndmask_b32_e32 v8, v16, v8, vcc
	v_cmp_eq_u32_e32 vcc, s10, v7
	s_nop 1
	v_cndmask_b32_e32 v2, v6, v2, vcc
	v_cmp_eq_u32_e32 vcc, s10, v9
	v_bitop3_b32 v2, v3, s16, v2 bitop3:0xc8
	s_nop 0
	v_cndmask_b32_e32 v4, v8, v4, vcc
	v_and_or_b32 v4, v5, s11, v4
	v_lshl_or_b32 v2, v4, 16, v2
	global_store_dword v[0:1], v2, off
	global_load_dword v4, v27, s[12:13]
	ds_read2st64_b32 v[2:3], v40 offset0:56 offset1:76
	v_lshl_add_u64 v[0:1], v[0:1], 0, s[8:9]
	s_waitcnt lgkmcnt(0)
	v_lshrrev_b32_e32 v5, 16, v2
	s_waitcnt vmcnt(0)
	v_mul_f16_sdwa v6, v5, v4 dst_sel:DWORD dst_unused:UNUSED_PAD src0_sel:DWORD src1_sel:WORD_1
	v_mul_f16_sdwa v7, v2, v4 dst_sel:DWORD dst_unused:UNUSED_PAD src0_sel:DWORD src1_sel:WORD_1
	v_fma_f16 v2, v2, v4, v6
	v_fma_f16 v4, v4, v5, -v7
	v_cvt_f32_f16_e32 v2, v2
	v_cvt_f32_f16_e32 v8, v4
	v_add_co_u32_e32 v4, vcc, s0, v42
	v_cvt_f64_f32_e32 v[6:7], v2
	v_cvt_f64_f32_e32 v[8:9], v8
	v_mul_f64 v[6:7], v[6:7], s[6:7]
	v_addc_co_u32_e32 v5, vcc, 0, v43, vcc
	v_mul_f64 v[8:9], v[8:9], s[6:7]
	v_and_or_b32 v2, v7, s15, v6
	v_and_or_b32 v8, v9, s15, v8
	v_cmp_ne_u32_e32 vcc, 0, v2
	v_lshrrev_b32_e32 v6, 8, v7
	v_bfe_u32 v10, v7, 20, 11
	v_cndmask_b32_e64 v2, 0, 1, vcc
	v_cmp_ne_u32_e32 vcc, 0, v8
	v_lshrrev_b32_e32 v11, 8, v9
	v_bfe_u32 v12, v9, 20, 11
	v_sub_u32_e32 v13, 0x3f1, v10
	v_cndmask_b32_e64 v8, 0, 1, vcc
	v_and_or_b32 v2, v6, s14, v2
	v_sub_u32_e32 v14, 0x3f1, v12
	v_med3_i32 v6, v13, 0, 13
	v_and_or_b32 v8, v11, s14, v8
	v_or_b32_e32 v13, 0x1000, v2
	v_add_u32_e32 v10, 0xfffffc10, v10
	v_med3_i32 v11, v14, 0, 13
	v_cmp_ne_u32_e32 vcc, 0, v2
	v_or_b32_e32 v15, 0x1000, v8
	v_lshrrev_b32_e32 v18, v6, v13
	v_add_u32_e32 v12, 0xfffffc10, v12
	v_lshl_or_b32 v14, v10, 12, v2
	v_cndmask_b32_e64 v2, 0, 1, vcc
	v_cmp_ne_u32_e32 vcc, 0, v8
	v_lshrrev_b32_e32 v20, v11, v15
	v_lshlrev_b32_e32 v6, v6, v18
	v_lshl_or_b32 v17, v12, 12, v8
	v_cndmask_b32_e64 v8, 0, 1, vcc
	v_lshlrev_b32_e32 v11, v11, v20
	v_cmp_ne_u32_e32 vcc, v6, v13
	v_lshl_or_b32 v2, v2, 9, v16
	v_lshl_or_b32 v8, v8, 9, v16
	v_cndmask_b32_e64 v6, 0, 1, vcc
	v_cmp_ne_u32_e32 vcc, v11, v15
	v_or_b32_e32 v6, v18, v6
	v_and_b32_sdwa v7, v7, s11 dst_sel:DWORD dst_unused:UNUSED_PAD src0_sel:WORD_1 src1_sel:DWORD
	v_cndmask_b32_e64 v11, 0, 1, vcc
	v_cmp_gt_i32_e32 vcc, 1, v10
	v_or_b32_e32 v11, v20, v11
	v_lshrrev_b32_e32 v9, 16, v9
	v_cndmask_b32_e32 v6, v14, v6, vcc
	v_cmp_gt_i32_e32 vcc, 1, v12
	v_and_b32_e32 v13, 7, v6
	v_cmp_eq_u32_e64 s[0:1], 3, v13
	v_cndmask_b32_e32 v11, v17, v11, vcc
	v_cmp_lt_i32_e32 vcc, 5, v13
	v_lshrrev_b32_e32 v6, 2, v6
	v_and_b32_e32 v14, 7, v11
	s_or_b64 vcc, s[0:1], vcc
	v_cmp_lt_i32_e64 s[2:3], 5, v14
	v_cmp_eq_u32_e64 s[4:5], 3, v14
	v_addc_co_u32_e32 v6, vcc, 0, v6, vcc
	v_lshrrev_b32_e32 v11, 2, v11
	s_or_b64 vcc, s[4:5], s[2:3]
	v_addc_co_u32_e32 v11, vcc, 0, v11, vcc
	v_cmp_gt_i32_e32 vcc, 31, v10
	s_nop 1
	v_cndmask_b32_e32 v6, v16, v6, vcc
	v_cmp_gt_i32_e32 vcc, 31, v12
	s_nop 1
	v_cndmask_b32_e32 v11, v16, v11, vcc
	v_cmp_eq_u32_e32 vcc, s10, v10
	s_nop 1
	v_cndmask_b32_e32 v2, v6, v2, vcc
	v_cmp_eq_u32_e32 vcc, s10, v12
	v_bitop3_b32 v2, v7, s16, v2 bitop3:0xc8
	s_nop 0
	v_cndmask_b32_e32 v6, v11, v8, vcc
	v_and_or_b32 v6, v9, s11, v6
	v_lshl_or_b32 v2, v6, 16, v2
	global_store_dword v[0:1], v2, off
	global_load_dword v2, v[4:5], off offset:3072
	v_lshrrev_b32_e32 v4, 16, v3
	v_lshl_add_u64 v[0:1], v[0:1], 0, s[8:9]
	s_waitcnt vmcnt(0)
	v_mul_f16_sdwa v5, v4, v2 dst_sel:DWORD dst_unused:UNUSED_PAD src0_sel:DWORD src1_sel:WORD_1
	v_mul_f16_sdwa v6, v3, v2 dst_sel:DWORD dst_unused:UNUSED_PAD src0_sel:DWORD src1_sel:WORD_1
	v_fma_f16 v3, v3, v2, v5
	v_fma_f16 v2, v2, v4, -v6
	v_cvt_f32_f16_e32 v3, v3
	v_cvt_f32_f16_e32 v4, v2
	v_cvt_f64_f32_e32 v[2:3], v3
	v_cvt_f64_f32_e32 v[4:5], v4
	v_mul_f64 v[2:3], v[2:3], s[6:7]
	v_mul_f64 v[4:5], v[4:5], s[6:7]
	v_and_or_b32 v2, v3, s15, v2
	v_and_or_b32 v4, v5, s15, v4
	v_cmp_ne_u32_e32 vcc, 0, v2
	v_lshrrev_b32_e32 v6, 8, v3
	v_bfe_u32 v7, v3, 20, 11
	v_cndmask_b32_e64 v2, 0, 1, vcc
	v_cmp_ne_u32_e32 vcc, 0, v4
	v_lshrrev_b32_e32 v8, 8, v5
	v_bfe_u32 v9, v5, 20, 11
	v_sub_u32_e32 v10, 0x3f1, v7
	v_cndmask_b32_e64 v4, 0, 1, vcc
	v_and_or_b32 v2, v6, s14, v2
	v_sub_u32_e32 v11, 0x3f1, v9
	v_med3_i32 v6, v10, 0, 13
	v_and_or_b32 v4, v8, s14, v4
	v_or_b32_e32 v10, 0x1000, v2
	v_add_u32_e32 v7, 0xfffffc10, v7
	v_med3_i32 v8, v11, 0, 13
	v_cmp_ne_u32_e32 vcc, 0, v2
	v_or_b32_e32 v12, 0x1000, v4
	v_lshrrev_b32_e32 v14, v6, v10
	v_add_u32_e32 v9, 0xfffffc10, v9
	v_lshl_or_b32 v11, v7, 12, v2
	v_cndmask_b32_e64 v2, 0, 1, vcc
	v_cmp_ne_u32_e32 vcc, 0, v4
	v_lshrrev_b32_e32 v15, v8, v12
	v_lshlrev_b32_e32 v6, v6, v14
	v_lshl_or_b32 v13, v9, 12, v4
	v_cndmask_b32_e64 v4, 0, 1, vcc
	v_lshlrev_b32_e32 v8, v8, v15
	v_cmp_ne_u32_e32 vcc, v6, v10
	v_lshl_or_b32 v2, v2, 9, v16
	v_lshl_or_b32 v4, v4, 9, v16
	v_cndmask_b32_e64 v6, 0, 1, vcc
	v_cmp_ne_u32_e32 vcc, v8, v12
	v_or_b32_e32 v6, v14, v6
	v_and_b32_sdwa v3, v3, s11 dst_sel:DWORD dst_unused:UNUSED_PAD src0_sel:WORD_1 src1_sel:DWORD
	v_cndmask_b32_e64 v8, 0, 1, vcc
	v_cmp_gt_i32_e32 vcc, 1, v7
	v_or_b32_e32 v8, v15, v8
	v_lshrrev_b32_e32 v5, 16, v5
	v_cndmask_b32_e32 v6, v11, v6, vcc
	v_cmp_gt_i32_e32 vcc, 1, v9
	v_and_b32_e32 v10, 7, v6
	v_cmp_eq_u32_e64 s[0:1], 3, v10
	v_cndmask_b32_e32 v8, v13, v8, vcc
	v_cmp_lt_i32_e32 vcc, 5, v10
	v_lshrrev_b32_e32 v6, 2, v6
	v_and_b32_e32 v11, 7, v8
	s_or_b64 vcc, s[0:1], vcc
	v_cmp_lt_i32_e64 s[2:3], 5, v11
	v_cmp_eq_u32_e64 s[4:5], 3, v11
	v_addc_co_u32_e32 v6, vcc, 0, v6, vcc
	v_lshrrev_b32_e32 v8, 2, v8
	s_or_b64 vcc, s[4:5], s[2:3]
	v_addc_co_u32_e32 v8, vcc, 0, v8, vcc
	v_cmp_gt_i32_e32 vcc, 31, v7
	s_movk_i32 s0, 0x7000
	s_nop 0
	v_cndmask_b32_e32 v6, v16, v6, vcc
	v_cmp_gt_i32_e32 vcc, 31, v9
	s_nop 1
	v_cndmask_b32_e32 v8, v16, v8, vcc
	v_cmp_eq_u32_e32 vcc, s10, v7
	s_nop 1
	v_cndmask_b32_e32 v2, v6, v2, vcc
	v_cmp_eq_u32_e32 vcc, s10, v9
	v_bitop3_b32 v2, v3, s16, v2 bitop3:0xc8
	s_nop 0
	v_cndmask_b32_e32 v4, v8, v4, vcc
	v_and_or_b32 v4, v5, s11, v4
	v_lshl_or_b32 v2, v4, 16, v2
	global_store_dword v[0:1], v2, off
	global_load_dword v4, v23, s[12:13]
	ds_read2st64_b32 v[2:3], v40 offset0:96 offset1:116
	v_lshl_add_u64 v[0:1], v[0:1], 0, s[8:9]
	s_waitcnt lgkmcnt(0)
	v_lshrrev_b32_e32 v5, 16, v2
	s_waitcnt vmcnt(0)
	v_mul_f16_sdwa v6, v5, v4 dst_sel:DWORD dst_unused:UNUSED_PAD src0_sel:DWORD src1_sel:WORD_1
	v_mul_f16_sdwa v7, v2, v4 dst_sel:DWORD dst_unused:UNUSED_PAD src0_sel:DWORD src1_sel:WORD_1
	v_fma_f16 v2, v2, v4, v6
	v_fma_f16 v4, v4, v5, -v7
	v_cvt_f32_f16_e32 v2, v2
	v_cvt_f32_f16_e32 v8, v4
	v_add_co_u32_e32 v4, vcc, s0, v42
	v_cvt_f64_f32_e32 v[6:7], v2
	v_cvt_f64_f32_e32 v[8:9], v8
	v_mul_f64 v[6:7], v[6:7], s[6:7]
	v_addc_co_u32_e32 v5, vcc, 0, v43, vcc
	v_mul_f64 v[8:9], v[8:9], s[6:7]
	v_and_or_b32 v2, v7, s15, v6
	v_and_or_b32 v8, v9, s15, v8
	v_cmp_ne_u32_e32 vcc, 0, v2
	v_lshrrev_b32_e32 v6, 8, v7
	v_bfe_u32 v10, v7, 20, 11
	v_cndmask_b32_e64 v2, 0, 1, vcc
	v_cmp_ne_u32_e32 vcc, 0, v8
	v_lshrrev_b32_e32 v11, 8, v9
	v_bfe_u32 v12, v9, 20, 11
	v_sub_u32_e32 v13, 0x3f1, v10
	v_cndmask_b32_e64 v8, 0, 1, vcc
	v_and_or_b32 v2, v6, s14, v2
	v_sub_u32_e32 v14, 0x3f1, v12
	v_med3_i32 v6, v13, 0, 13
	v_and_or_b32 v8, v11, s14, v8
	v_or_b32_e32 v13, 0x1000, v2
	v_add_u32_e32 v10, 0xfffffc10, v10
	v_med3_i32 v11, v14, 0, 13
	v_cmp_ne_u32_e32 vcc, 0, v2
	v_or_b32_e32 v15, 0x1000, v8
	v_lshrrev_b32_e32 v18, v6, v13
	v_add_u32_e32 v12, 0xfffffc10, v12
	v_lshl_or_b32 v14, v10, 12, v2
	v_cndmask_b32_e64 v2, 0, 1, vcc
	v_cmp_ne_u32_e32 vcc, 0, v8
	v_lshrrev_b32_e32 v20, v11, v15
	v_lshlrev_b32_e32 v6, v6, v18
	v_lshl_or_b32 v17, v12, 12, v8
	v_cndmask_b32_e64 v8, 0, 1, vcc
	v_lshlrev_b32_e32 v11, v11, v20
	v_cmp_ne_u32_e32 vcc, v6, v13
	v_lshl_or_b32 v2, v2, 9, v16
	v_lshl_or_b32 v8, v8, 9, v16
	v_cndmask_b32_e64 v6, 0, 1, vcc
	v_cmp_ne_u32_e32 vcc, v11, v15
	v_or_b32_e32 v6, v18, v6
	v_and_b32_sdwa v7, v7, s11 dst_sel:DWORD dst_unused:UNUSED_PAD src0_sel:WORD_1 src1_sel:DWORD
	v_cndmask_b32_e64 v11, 0, 1, vcc
	v_cmp_gt_i32_e32 vcc, 1, v10
	v_or_b32_e32 v11, v20, v11
	v_lshrrev_b32_e32 v9, 16, v9
	v_cndmask_b32_e32 v6, v14, v6, vcc
	v_cmp_gt_i32_e32 vcc, 1, v12
	v_and_b32_e32 v13, 7, v6
	v_cmp_eq_u32_e64 s[0:1], 3, v13
	v_cndmask_b32_e32 v11, v17, v11, vcc
	v_cmp_lt_i32_e32 vcc, 5, v13
	v_lshrrev_b32_e32 v6, 2, v6
	v_and_b32_e32 v14, 7, v11
	s_or_b64 vcc, s[0:1], vcc
	v_cmp_lt_i32_e64 s[2:3], 5, v14
	v_cmp_eq_u32_e64 s[4:5], 3, v14
	v_addc_co_u32_e32 v6, vcc, 0, v6, vcc
	v_lshrrev_b32_e32 v11, 2, v11
	s_or_b64 vcc, s[4:5], s[2:3]
	v_addc_co_u32_e32 v11, vcc, 0, v11, vcc
	v_cmp_gt_i32_e32 vcc, 31, v10
	s_nop 1
	v_cndmask_b32_e32 v6, v16, v6, vcc
	v_cmp_gt_i32_e32 vcc, 31, v12
	s_nop 1
	v_cndmask_b32_e32 v11, v16, v11, vcc
	v_cmp_eq_u32_e32 vcc, s10, v10
	s_nop 1
	v_cndmask_b32_e32 v2, v6, v2, vcc
	v_cmp_eq_u32_e32 vcc, s10, v12
	v_bitop3_b32 v2, v7, s16, v2 bitop3:0xc8
	s_nop 0
	v_cndmask_b32_e32 v6, v11, v8, vcc
	v_and_or_b32 v6, v9, s11, v6
	v_lshl_or_b32 v2, v6, 16, v2
	global_store_dword v[0:1], v2, off
	global_load_dword v2, v[4:5], off offset:1024
	v_lshrrev_b32_e32 v4, 16, v3
	v_lshl_add_u64 v[0:1], v[0:1], 0, s[8:9]
	s_waitcnt vmcnt(0)
	v_mul_f16_sdwa v5, v4, v2 dst_sel:DWORD dst_unused:UNUSED_PAD src0_sel:DWORD src1_sel:WORD_1
	v_mul_f16_sdwa v6, v3, v2 dst_sel:DWORD dst_unused:UNUSED_PAD src0_sel:DWORD src1_sel:WORD_1
	v_fma_f16 v3, v3, v2, v5
	v_fma_f16 v2, v2, v4, -v6
	v_cvt_f32_f16_e32 v3, v3
	v_cvt_f32_f16_e32 v4, v2
	v_cvt_f64_f32_e32 v[2:3], v3
	v_cvt_f64_f32_e32 v[4:5], v4
	v_mul_f64 v[2:3], v[2:3], s[6:7]
	v_mul_f64 v[4:5], v[4:5], s[6:7]
	v_and_or_b32 v2, v3, s15, v2
	v_and_or_b32 v4, v5, s15, v4
	v_cmp_ne_u32_e32 vcc, 0, v2
	v_lshrrev_b32_e32 v6, 8, v3
	v_bfe_u32 v7, v3, 20, 11
	v_cndmask_b32_e64 v2, 0, 1, vcc
	v_cmp_ne_u32_e32 vcc, 0, v4
	v_lshrrev_b32_e32 v8, 8, v5
	v_bfe_u32 v9, v5, 20, 11
	v_sub_u32_e32 v10, 0x3f1, v7
	v_cndmask_b32_e64 v4, 0, 1, vcc
	v_and_or_b32 v2, v6, s14, v2
	v_sub_u32_e32 v11, 0x3f1, v9
	v_med3_i32 v6, v10, 0, 13
	v_and_or_b32 v4, v8, s14, v4
	v_or_b32_e32 v10, 0x1000, v2
	v_add_u32_e32 v7, 0xfffffc10, v7
	v_med3_i32 v8, v11, 0, 13
	v_cmp_ne_u32_e32 vcc, 0, v2
	v_or_b32_e32 v12, 0x1000, v4
	v_lshrrev_b32_e32 v14, v6, v10
	v_add_u32_e32 v9, 0xfffffc10, v9
	v_lshl_or_b32 v11, v7, 12, v2
	v_cndmask_b32_e64 v2, 0, 1, vcc
	v_cmp_ne_u32_e32 vcc, 0, v4
	v_lshrrev_b32_e32 v15, v8, v12
	v_lshlrev_b32_e32 v6, v6, v14
	v_lshl_or_b32 v13, v9, 12, v4
	v_cndmask_b32_e64 v4, 0, 1, vcc
	v_lshlrev_b32_e32 v8, v8, v15
	v_cmp_ne_u32_e32 vcc, v6, v10
	v_lshl_or_b32 v2, v2, 9, v16
	v_lshl_or_b32 v4, v4, 9, v16
	v_cndmask_b32_e64 v6, 0, 1, vcc
	v_cmp_ne_u32_e32 vcc, v8, v12
	v_or_b32_e32 v6, v14, v6
	v_and_b32_sdwa v3, v3, s11 dst_sel:DWORD dst_unused:UNUSED_PAD src0_sel:WORD_1 src1_sel:DWORD
	v_cndmask_b32_e64 v8, 0, 1, vcc
	v_cmp_gt_i32_e32 vcc, 1, v7
	v_or_b32_e32 v8, v15, v8
	v_lshrrev_b32_e32 v5, 16, v5
	v_cndmask_b32_e32 v6, v11, v6, vcc
	v_cmp_gt_i32_e32 vcc, 1, v9
	v_and_b32_e32 v10, 7, v6
	v_cmp_eq_u32_e64 s[0:1], 3, v10
	v_cndmask_b32_e32 v8, v13, v8, vcc
	v_cmp_lt_i32_e32 vcc, 5, v10
	v_lshrrev_b32_e32 v6, 2, v6
	v_and_b32_e32 v11, 7, v8
	s_or_b64 vcc, s[0:1], vcc
	v_cmp_lt_i32_e64 s[2:3], 5, v11
	v_cmp_eq_u32_e64 s[4:5], 3, v11
	v_addc_co_u32_e32 v6, vcc, 0, v6, vcc
	v_lshrrev_b32_e32 v8, 2, v8
	s_or_b64 vcc, s[4:5], s[2:3]
	v_addc_co_u32_e32 v8, vcc, 0, v8, vcc
	v_cmp_gt_i32_e32 vcc, 31, v7
	s_mov_b32 s0, 0x9000
	s_nop 0
	v_cndmask_b32_e32 v6, v16, v6, vcc
	v_cmp_gt_i32_e32 vcc, 31, v9
	s_nop 1
	v_cndmask_b32_e32 v8, v16, v8, vcc
	v_cmp_eq_u32_e32 vcc, s10, v7
	s_nop 1
	v_cndmask_b32_e32 v2, v6, v2, vcc
	v_cmp_eq_u32_e32 vcc, s10, v9
	v_bitop3_b32 v2, v3, s16, v2 bitop3:0xc8
	s_nop 0
	v_cndmask_b32_e32 v4, v8, v4, vcc
	v_and_or_b32 v4, v5, s11, v4
	v_lshl_or_b32 v2, v4, 16, v2
	global_store_dword v[0:1], v2, off
	global_load_dword v4, v19, s[12:13]
	ds_read2st64_b32 v[2:3], v40 offset0:136 offset1:156
	v_lshl_add_u64 v[0:1], v[0:1], 0, s[8:9]
	s_waitcnt lgkmcnt(0)
	v_lshrrev_b32_e32 v5, 16, v2
	s_waitcnt vmcnt(0)
	v_mul_f16_sdwa v6, v5, v4 dst_sel:DWORD dst_unused:UNUSED_PAD src0_sel:DWORD src1_sel:WORD_1
	v_mul_f16_sdwa v7, v2, v4 dst_sel:DWORD dst_unused:UNUSED_PAD src0_sel:DWORD src1_sel:WORD_1
	v_fma_f16 v2, v2, v4, v6
	v_fma_f16 v4, v4, v5, -v7
	v_cvt_f32_f16_e32 v2, v2
	v_cvt_f32_f16_e32 v8, v4
	v_add_co_u32_e32 v4, vcc, s0, v42
	v_cvt_f64_f32_e32 v[6:7], v2
	v_cvt_f64_f32_e32 v[8:9], v8
	v_mul_f64 v[6:7], v[6:7], s[6:7]
	v_addc_co_u32_e32 v5, vcc, 0, v43, vcc
	v_mul_f64 v[8:9], v[8:9], s[6:7]
	v_and_or_b32 v2, v7, s15, v6
	v_and_or_b32 v8, v9, s15, v8
	v_cmp_ne_u32_e32 vcc, 0, v2
	v_lshrrev_b32_e32 v6, 8, v7
	v_bfe_u32 v10, v7, 20, 11
	v_cndmask_b32_e64 v2, 0, 1, vcc
	v_cmp_ne_u32_e32 vcc, 0, v8
	v_lshrrev_b32_e32 v11, 8, v9
	v_bfe_u32 v12, v9, 20, 11
	v_sub_u32_e32 v13, 0x3f1, v10
	v_cndmask_b32_e64 v8, 0, 1, vcc
	v_and_or_b32 v2, v6, s14, v2
	v_sub_u32_e32 v14, 0x3f1, v12
	v_med3_i32 v6, v13, 0, 13
	v_and_or_b32 v8, v11, s14, v8
	v_or_b32_e32 v13, 0x1000, v2
	v_add_u32_e32 v10, 0xfffffc10, v10
	v_med3_i32 v11, v14, 0, 13
	v_cmp_ne_u32_e32 vcc, 0, v2
	v_or_b32_e32 v15, 0x1000, v8
	v_lshrrev_b32_e32 v18, v6, v13
	v_add_u32_e32 v12, 0xfffffc10, v12
	v_lshl_or_b32 v14, v10, 12, v2
	v_cndmask_b32_e64 v2, 0, 1, vcc
	v_cmp_ne_u32_e32 vcc, 0, v8
	v_lshrrev_b32_e32 v19, v11, v15
	v_lshlrev_b32_e32 v6, v6, v18
	v_lshl_or_b32 v17, v12, 12, v8
	v_cndmask_b32_e64 v8, 0, 1, vcc
	v_lshlrev_b32_e32 v11, v11, v19
	v_cmp_ne_u32_e32 vcc, v6, v13
	v_lshl_or_b32 v2, v2, 9, v16
	v_lshl_or_b32 v8, v8, 9, v16
	v_cndmask_b32_e64 v6, 0, 1, vcc
	v_cmp_ne_u32_e32 vcc, v11, v15
	v_or_b32_e32 v6, v18, v6
	v_and_b32_sdwa v7, v7, s11 dst_sel:DWORD dst_unused:UNUSED_PAD src0_sel:WORD_1 src1_sel:DWORD
	v_cndmask_b32_e64 v11, 0, 1, vcc
	v_cmp_gt_i32_e32 vcc, 1, v10
	v_or_b32_e32 v11, v19, v11
	v_lshrrev_b32_e32 v9, 16, v9
	v_cndmask_b32_e32 v6, v14, v6, vcc
	v_cmp_gt_i32_e32 vcc, 1, v12
	v_and_b32_e32 v13, 7, v6
	v_cmp_eq_u32_e64 s[0:1], 3, v13
	v_cndmask_b32_e32 v11, v17, v11, vcc
	v_cmp_lt_i32_e32 vcc, 5, v13
	v_lshrrev_b32_e32 v6, 2, v6
	v_and_b32_e32 v14, 7, v11
	s_or_b64 vcc, s[0:1], vcc
	v_cmp_lt_i32_e64 s[2:3], 5, v14
	v_cmp_eq_u32_e64 s[4:5], 3, v14
	v_addc_co_u32_e32 v6, vcc, 0, v6, vcc
	v_lshrrev_b32_e32 v11, 2, v11
	s_or_b64 vcc, s[4:5], s[2:3]
	v_addc_co_u32_e32 v11, vcc, 0, v11, vcc
	v_cmp_gt_i32_e32 vcc, 31, v10
	s_nop 1
	v_cndmask_b32_e32 v6, v16, v6, vcc
	v_cmp_gt_i32_e32 vcc, 31, v12
	s_nop 1
	v_cndmask_b32_e32 v11, v16, v11, vcc
	v_cmp_eq_u32_e32 vcc, s10, v10
	s_nop 1
	v_cndmask_b32_e32 v2, v6, v2, vcc
	v_cmp_eq_u32_e32 vcc, s10, v12
	v_bitop3_b32 v2, v7, s16, v2 bitop3:0xc8
	s_nop 0
	v_cndmask_b32_e32 v6, v11, v8, vcc
	v_and_or_b32 v6, v9, s11, v6
	v_lshl_or_b32 v2, v6, 16, v2
	global_store_dword v[0:1], v2, off
	global_load_dword v2, v[4:5], off offset:3072
	v_lshrrev_b32_e32 v4, 16, v3
	v_lshl_add_u64 v[0:1], v[0:1], 0, s[8:9]
	s_waitcnt vmcnt(0)
	v_mul_f16_sdwa v5, v4, v2 dst_sel:DWORD dst_unused:UNUSED_PAD src0_sel:DWORD src1_sel:WORD_1
	v_mul_f16_sdwa v6, v3, v2 dst_sel:DWORD dst_unused:UNUSED_PAD src0_sel:DWORD src1_sel:WORD_1
	v_fma_f16 v3, v3, v2, v5
	v_fma_f16 v2, v2, v4, -v6
	v_cvt_f32_f16_e32 v3, v3
	v_cvt_f32_f16_e32 v4, v2
	v_cvt_f64_f32_e32 v[2:3], v3
	v_cvt_f64_f32_e32 v[4:5], v4
	v_mul_f64 v[2:3], v[2:3], s[6:7]
	v_mul_f64 v[4:5], v[4:5], s[6:7]
	v_and_or_b32 v2, v3, s15, v2
	v_and_or_b32 v4, v5, s15, v4
	v_cmp_ne_u32_e32 vcc, 0, v2
	v_lshrrev_b32_e32 v6, 8, v3
	v_bfe_u32 v7, v3, 20, 11
	v_cndmask_b32_e64 v2, 0, 1, vcc
	v_cmp_ne_u32_e32 vcc, 0, v4
	v_lshrrev_b32_e32 v8, 8, v5
	v_bfe_u32 v9, v5, 20, 11
	v_sub_u32_e32 v10, 0x3f1, v7
	v_cndmask_b32_e64 v4, 0, 1, vcc
	v_and_or_b32 v2, v6, s14, v2
	v_sub_u32_e32 v11, 0x3f1, v9
	v_med3_i32 v6, v10, 0, 13
	v_and_or_b32 v4, v8, s14, v4
	v_or_b32_e32 v10, 0x1000, v2
	v_add_u32_e32 v7, 0xfffffc10, v7
	v_med3_i32 v8, v11, 0, 13
	v_cmp_ne_u32_e32 vcc, 0, v2
	v_or_b32_e32 v12, 0x1000, v4
	v_lshrrev_b32_e32 v14, v6, v10
	v_add_u32_e32 v9, 0xfffffc10, v9
	v_lshl_or_b32 v11, v7, 12, v2
	v_cndmask_b32_e64 v2, 0, 1, vcc
	v_cmp_ne_u32_e32 vcc, 0, v4
	v_lshrrev_b32_e32 v15, v8, v12
	v_lshlrev_b32_e32 v6, v6, v14
	v_lshl_or_b32 v13, v9, 12, v4
	v_cndmask_b32_e64 v4, 0, 1, vcc
	v_lshlrev_b32_e32 v8, v8, v15
	v_cmp_ne_u32_e32 vcc, v6, v10
	v_lshl_or_b32 v2, v2, 9, v16
	v_lshl_or_b32 v4, v4, 9, v16
	v_cndmask_b32_e64 v6, 0, 1, vcc
	v_cmp_ne_u32_e32 vcc, v8, v12
	v_or_b32_e32 v6, v14, v6
	v_and_b32_sdwa v3, v3, s11 dst_sel:DWORD dst_unused:UNUSED_PAD src0_sel:WORD_1 src1_sel:DWORD
	v_cndmask_b32_e64 v8, 0, 1, vcc
	v_cmp_gt_i32_e32 vcc, 1, v7
	v_or_b32_e32 v8, v15, v8
	v_lshrrev_b32_e32 v5, 16, v5
	v_cndmask_b32_e32 v6, v11, v6, vcc
	v_cmp_gt_i32_e32 vcc, 1, v9
	v_and_b32_e32 v10, 7, v6
	v_cmp_eq_u32_e64 s[0:1], 3, v10
	v_cndmask_b32_e32 v8, v13, v8, vcc
	v_cmp_lt_i32_e32 vcc, 5, v10
	v_lshrrev_b32_e32 v6, 2, v6
	v_and_b32_e32 v11, 7, v8
	s_or_b64 vcc, s[0:1], vcc
	v_cmp_lt_i32_e64 s[2:3], 5, v11
	v_cmp_eq_u32_e64 s[4:5], 3, v11
	v_addc_co_u32_e32 v6, vcc, 0, v6, vcc
	v_lshrrev_b32_e32 v8, 2, v8
	s_or_b64 vcc, s[4:5], s[2:3]
	v_addc_co_u32_e32 v8, vcc, 0, v8, vcc
	v_cmp_gt_i32_e32 vcc, 31, v7
	s_nop 1
	v_cndmask_b32_e32 v6, v16, v6, vcc
	v_cmp_gt_i32_e32 vcc, 31, v9
	s_nop 1
	v_cndmask_b32_e32 v8, v16, v8, vcc
	v_cmp_eq_u32_e32 vcc, s10, v7
	s_nop 1
	v_cndmask_b32_e32 v2, v6, v2, vcc
	v_cmp_eq_u32_e32 vcc, s10, v9
	v_bitop3_b32 v2, v3, s16, v2 bitop3:0xc8
	s_nop 0
	v_cndmask_b32_e32 v4, v8, v4, vcc
	v_and_or_b32 v4, v5, s11, v4
	v_lshl_or_b32 v2, v4, 16, v2
	global_store_dword v[0:1], v2, off
.LBB0_15:
	s_endpgm
	.section	.rodata,"a",@progbits
	.p2align	6, 0x0
	.amdhsa_kernel bluestein_single_back_len10240_dim1_half_op_CI_CI
		.amdhsa_group_segment_fixed_size 40960
		.amdhsa_private_segment_fixed_size 0
		.amdhsa_kernarg_size 104
		.amdhsa_user_sgpr_count 2
		.amdhsa_user_sgpr_dispatch_ptr 0
		.amdhsa_user_sgpr_queue_ptr 0
		.amdhsa_user_sgpr_kernarg_segment_ptr 1
		.amdhsa_user_sgpr_dispatch_id 0
		.amdhsa_user_sgpr_kernarg_preload_length 0
		.amdhsa_user_sgpr_kernarg_preload_offset 0
		.amdhsa_user_sgpr_private_segment_size 0
		.amdhsa_uses_dynamic_stack 0
		.amdhsa_enable_private_segment 0
		.amdhsa_system_sgpr_workgroup_id_x 1
		.amdhsa_system_sgpr_workgroup_id_y 0
		.amdhsa_system_sgpr_workgroup_id_z 0
		.amdhsa_system_sgpr_workgroup_info 0
		.amdhsa_system_vgpr_workitem_id 0
		.amdhsa_next_free_vgpr 124
		.amdhsa_next_free_sgpr 19
		.amdhsa_accum_offset 124
		.amdhsa_reserve_vcc 1
		.amdhsa_float_round_mode_32 0
		.amdhsa_float_round_mode_16_64 0
		.amdhsa_float_denorm_mode_32 3
		.amdhsa_float_denorm_mode_16_64 3
		.amdhsa_dx10_clamp 1
		.amdhsa_ieee_mode 1
		.amdhsa_fp16_overflow 0
		.amdhsa_tg_split 0
		.amdhsa_exception_fp_ieee_invalid_op 0
		.amdhsa_exception_fp_denorm_src 0
		.amdhsa_exception_fp_ieee_div_zero 0
		.amdhsa_exception_fp_ieee_overflow 0
		.amdhsa_exception_fp_ieee_underflow 0
		.amdhsa_exception_fp_ieee_inexact 0
		.amdhsa_exception_int_div_zero 0
	.end_amdhsa_kernel
	.text
.Lfunc_end0:
	.size	bluestein_single_back_len10240_dim1_half_op_CI_CI, .Lfunc_end0-bluestein_single_back_len10240_dim1_half_op_CI_CI
                                        ; -- End function
	.section	.AMDGPU.csdata,"",@progbits
; Kernel info:
; codeLenInByte = 35824
; NumSgprs: 25
; NumVgprs: 124
; NumAgprs: 0
; TotalNumVgprs: 124
; ScratchSize: 0
; MemoryBound: 0
; FloatMode: 240
; IeeeMode: 1
; LDSByteSize: 40960 bytes/workgroup (compile time only)
; SGPRBlocks: 3
; VGPRBlocks: 15
; NumSGPRsForWavesPerEU: 25
; NumVGPRsForWavesPerEU: 124
; AccumOffset: 124
; Occupancy: 4
; WaveLimiterHint : 1
; COMPUTE_PGM_RSRC2:SCRATCH_EN: 0
; COMPUTE_PGM_RSRC2:USER_SGPR: 2
; COMPUTE_PGM_RSRC2:TRAP_HANDLER: 0
; COMPUTE_PGM_RSRC2:TGID_X_EN: 1
; COMPUTE_PGM_RSRC2:TGID_Y_EN: 0
; COMPUTE_PGM_RSRC2:TGID_Z_EN: 0
; COMPUTE_PGM_RSRC2:TIDIG_COMP_CNT: 0
; COMPUTE_PGM_RSRC3_GFX90A:ACCUM_OFFSET: 30
; COMPUTE_PGM_RSRC3_GFX90A:TG_SPLIT: 0
	.text
	.p2alignl 6, 3212836864
	.fill 256, 4, 3212836864
	.type	__hip_cuid_b41ab71604ed375b,@object ; @__hip_cuid_b41ab71604ed375b
	.section	.bss,"aw",@nobits
	.globl	__hip_cuid_b41ab71604ed375b
__hip_cuid_b41ab71604ed375b:
	.byte	0                               ; 0x0
	.size	__hip_cuid_b41ab71604ed375b, 1

	.ident	"AMD clang version 19.0.0git (https://github.com/RadeonOpenCompute/llvm-project roc-6.4.0 25133 c7fe45cf4b819c5991fe208aaa96edf142730f1d)"
	.section	".note.GNU-stack","",@progbits
	.addrsig
	.addrsig_sym __hip_cuid_b41ab71604ed375b
	.amdgpu_metadata
---
amdhsa.kernels:
  - .agpr_count:     0
    .args:
      - .actual_access:  read_only
        .address_space:  global
        .offset:         0
        .size:           8
        .value_kind:     global_buffer
      - .actual_access:  read_only
        .address_space:  global
        .offset:         8
        .size:           8
        .value_kind:     global_buffer
      - .actual_access:  read_only
        .address_space:  global
        .offset:         16
        .size:           8
        .value_kind:     global_buffer
      - .actual_access:  read_only
        .address_space:  global
        .offset:         24
        .size:           8
        .value_kind:     global_buffer
      - .actual_access:  read_only
        .address_space:  global
        .offset:         32
        .size:           8
        .value_kind:     global_buffer
      - .offset:         40
        .size:           8
        .value_kind:     by_value
      - .address_space:  global
        .offset:         48
        .size:           8
        .value_kind:     global_buffer
      - .address_space:  global
        .offset:         56
        .size:           8
        .value_kind:     global_buffer
      - .address_space:  global
        .offset:         64
        .size:           8
        .value_kind:     global_buffer
      - .address_space:  global
        .offset:         72
        .size:           8
        .value_kind:     global_buffer
      - .offset:         80
        .size:           4
        .value_kind:     by_value
      - .address_space:  global
        .offset:         88
        .size:           8
        .value_kind:     global_buffer
      - .address_space:  global
        .offset:         96
        .size:           8
        .value_kind:     global_buffer
    .group_segment_fixed_size: 40960
    .kernarg_segment_align: 8
    .kernarg_segment_size: 104
    .language:       OpenCL C
    .language_version:
      - 2
      - 0
    .max_flat_workgroup_size: 512
    .name:           bluestein_single_back_len10240_dim1_half_op_CI_CI
    .private_segment_fixed_size: 0
    .sgpr_count:     25
    .sgpr_spill_count: 0
    .symbol:         bluestein_single_back_len10240_dim1_half_op_CI_CI.kd
    .uniform_work_group_size: 1
    .uses_dynamic_stack: false
    .vgpr_count:     124
    .vgpr_spill_count: 0
    .wavefront_size: 64
amdhsa.target:   amdgcn-amd-amdhsa--gfx950
amdhsa.version:
  - 1
  - 2
...

	.end_amdgpu_metadata
